;; amdgpu-corpus repo=ROCm/aiter kind=harvested arch=n/a opt=n/a

/root/src/amdgpu-assembly/repos/ROCm__aiter/hsa/gfx950/mla/mla_a8w8_qh64_qseqlen1_gqaratio64_v3_ps.co:	file format elf64-amdgpu

Disassembly of section .text:

0000000000002300 <_ZN5aiter39mla_a8w8_qh64_qseqlen1_gqaratio64_v3_psE>:
	s_and_b32 s1, s1, 0xffff                                   // 000000002300: 8601FF01 0000FFFF
	s_load_dwordx2 s[28:29], s[0:1], 0xe0                      // 000000002308: C0060700 000000E0
	v_lshrrev_b32_e32 v1, 10, v0                               // 000000002310: 2002008A
	v_lshrrev_b32_e32 v2, 10, v1                               // 000000002314: 2004028A
	v_and_b32_e32 v2, 0x3ff, v2                                // 000000002318: 260404FF 000003FF
	v_and_b32_e32 v1, 0x3ff, v1                                // 000000002320: 260202FF 000003FF
	v_and_b32_e32 v0, 0x3ff, v0                                // 000000002328: 260000FF 000003FF
	v_lshrrev_b32_e32 v3, 6, v0                                // 000000002330: 20060086
	v_and_b32_e32 v0, 63, v0                                   // 000000002334: 260000BF
	s_mov_b32 s2, s2                                           // 000000002338: BE820002
	s_mov_b32 s3, s3                                           // 00000000233C: BE830003
	s_mov_b32 s4, s4                                           // 000000002340: BE840004
	v_readfirstlane_b32 s7, v3                                 // 000000002344: 7E0E0503
	s_waitcnt lgkmcnt(0)                                       // 000000002348: BF8CC07F
	s_and_b32 s29, s29, 0xffff                                 // 00000000234C: 861DFF1D 0000FFFF
	s_load_dwordx2 s[32:33], s[28:29], 0x0                     // 000000002354: C006080E 00000000
	s_load_dwordx2 s[30:31], s[28:29], 0x8                     // 00000000235C: C006078E 00000008
	s_waitcnt lgkmcnt(0)                                       // 000000002364: BF8CC07F
	s_mul_i32 s56, s2, 4                                       // 000000002368: 92388402
	s_and_b32 s33, s33, 0xffff                                 // 00000000236C: 8621FF21 0000FFFF
	s_add_u32 s32, s56, s32                                    // 000000002374: 80202038
	s_addc_u32 s33, 0, s33                                     // 000000002378: 82212180
	s_load_dword s85, s[32:33], 0x0                            // 00000000237C: C0021550 00000000
	s_load_dword s86, s[32:33], 0x4                            // 000000002384: C0021590 00000004
	s_and_b32 s31, s31, 0xffff                                 // 00000000238C: 861FFF1F 0000FFFF
	s_waitcnt lgkmcnt(0)                                       // 000000002394: BF8CC07F
	s_cmp_eq_i32 s85, s86                                      // 000000002398: BF005655
	s_cbranch_scc1 label_9C14                                  // 00000000239C: BF8526DD
	s_mul_i32 s56, s85, 32                                     // 0000000023A0: 9238A055

00000000000023a4 <label_00A4>:
	s_waitcnt vmcnt(0) expcnt(0) lgkmcnt(0)                    // 0000000023A4: BF8C0000
	s_barrier                                                  // 0000000023A8: BF8A0000
	s_add_u32 s30, s56, s30                                    // 0000000023AC: 801E1E38
	s_addc_u32 s31, 0, s31                                     // 0000000023B0: 821F1F80
	s_load_dword s87, s[30:31], 0x4                            // 0000000023B4: C00215CF 00000004
	s_load_dword s79, s[30:31], 0x8                            // 0000000023BC: C00213CF 00000008
	s_load_dword s78, s[30:31], 0xc                            // 0000000023C4: C002138F 0000000C
	s_load_dword s47, s[30:31], 0x10                           // 0000000023CC: C0020BCF 00000010
	s_load_dword s46, s[30:31], 0x14                           // 0000000023D4: C0020B8F 00000014
	s_load_dword s77, s[30:31], 0x18                           // 0000000023DC: C002134F 00000018
	s_load_dwordx2 s[8:9], s[0:1], 0x0                         // 0000000023E4: C0060200 00000000
	s_load_dwordx2 s[12:13], s[0:1], 0x10                      // 0000000023EC: C0060300 00000010
	s_load_dwordx2 s[16:17], s[0:1], 0x20                      // 0000000023F4: C0060400 00000020
	s_load_dwordx2 s[20:21], s[0:1], 0x30                      // 0000000023FC: C0060500 00000030
	s_load_dwordx2 s[24:25], s[0:1], 0x50                      // 000000002404: C0060600 00000050
	s_load_dword s64, s[0:1], 0x70                             // 00000000240C: C0021000 00000070
	s_load_dword s65, s[0:1], 0x80                             // 000000002414: C0021040 00000080
	s_load_dword s67, s[0:1], 0x90                             // 00000000241C: C00210C0 00000090
	s_load_dword s66, s[0:1], 0xa0                             // 000000002424: C0021080 000000A0
	s_load_dword s68, s[0:1], 0xb0                             // 00000000242C: C0021100 000000B0
	s_load_dword s69, s[0:1], 0xc0                             // 000000002434: C0021140 000000C0
	s_load_dwordx2 s[88:89], s[0:1], 0xf0                      // 00000000243C: C0061600 000000F0
	s_load_dwordx2 s[40:41], s[0:1], 0x100                     // 000000002444: C0060A00 00000100
	s_load_dwordx2 s[42:43], s[0:1], 0x110                     // 00000000244C: C0060A80 00000110
	s_waitcnt lgkmcnt(0)                                       // 000000002454: BF8CC07F
	s_sub_u32 s81, s78, s79                                    // 000000002458: 80D14F4E
	s_mul_i32 s74, 0x240, s65                                  // 00000000245C: 924A41FF 00000240
	s_mul_i32 s56, 4, s65                                      // 000000002464: 92384184
	s_mov_b32 s10, s75                                         // 000000002468: BE8A004B
	s_mov_b32 s18, s74                                         // 00000000246C: BE92004A
	s_mov_b32 s14, s56                                         // 000000002470: BE8E0038
	s_mov_b32 s22, -16                                         // 000000002474: BE9600D0
	s_mov_b32 s26, -16                                         // 000000002478: BE9A00D0
	s_mov_b32 s11, 0x20000                                     // 00000000247C: BE8B00FF 00020000
	s_mov_b32 s91, 0x20000                                     // 000000002484: BEDB00FF 00020000
	s_mov_b32 s19, 0x20000                                     // 00000000248C: BE9300FF 00020000
	s_mov_b32 s15, 0x20000                                     // 000000002494: BE8F00FF 00020000
	s_mov_b32 s23, 0x20000                                     // 00000000249C: BE9700FF 00020000
	s_mov_b32 s27, 0x20000                                     // 0000000024A4: BE9B00FF 00020000
	s_and_b32 s9, s9, 0xffff                                   // 0000000024AC: 8609FF09 0000FFFF
	s_and_b32 s89, s89, 0xffff                                 // 0000000024B4: 8659FF59 0000FFFF
	s_and_b32 s17, s17, 0xffff                                 // 0000000024BC: 8611FF11 0000FFFF
	s_and_b32 s13, s13, 0xffff                                 // 0000000024C4: 860DFF0D 0000FFFF
	s_and_b32 s21, s21, 0xffff                                 // 0000000024CC: 8615FF15 0000FFFF
	s_and_b32 s25, s25, 0xffff                                 // 0000000024D4: 8619FF19 0000FFFF
	s_and_b32 s41, s41, 0xffff                                 // 0000000024DC: 8629FF29 0000FFFF
	s_and_b32 s43, s43, 0xffff                                 // 0000000024E4: 862BFF2B 0000FFFF
	s_or_b32 s9, s9, 0x40000                                   // 0000000024EC: 8709FF09 00040000
	s_or_b32 s89, s89, 0x40000                                 // 0000000024F4: 8759FF59 00040000
	s_or_b32 s17, s17, 0x40000                                 // 0000000024FC: 8711FF11 00040000
	s_or_b32 s13, s13, 0x40000                                 // 000000002504: 870DFF0D 00040000
	s_or_b32 s21, s21, 0x40000                                 // 00000000250C: 8715FF15 00040000
	s_or_b32 s25, s25, 0x40000                                 // 000000002514: 8719FF19 00040000
	s_mov_b32 s67, 1                                           // 00000000251C: BEC30081
	s_mov_b32 s80, 0                                           // 000000002520: BED00080
	s_waitcnt lgkmcnt(0)                                       // 000000002524: BF8CC07F
	s_load_dword s60, s[40:41], 0x0                            // 000000002528: C0020F14 00000000
	s_load_dword s61, s[42:43], 0x0                            // 000000002530: C0020F55 00000000
	s_mov_b32 s69, 0                                           // 000000002538: BEC50080
	s_lshr_b32 s44, 64, s69                                    // 00000000253C: 8F2C45C0
	s_mul_i32 s73, s44, 4                                      // 000000002540: 9249842C
	s_mul_i32 s73, s73, s67                                    // 000000002544: 92494349
	s_mul_i32 s45, s4, s44                                     // 000000002548: 922D2C04
	s_sub_u32 s50, s46, s47                                    // 00000000254C: 80B22F2E
	s_cmp_le_u32 s50, s45                                      // 000000002550: BF0B2D32
	s_cbranch_scc1 label_9C14                                  // 000000002554: BF85266F
	s_mul_i32 s56, s50, 4                                      // 000000002558: 92388432
	s_mov_b32 s26, s56                                         // 00000000255C: BE9A0038
	s_mul_i32 s56, s47, 4                                      // 000000002560: 9238842F
	s_add_u32 s24, s56, s24                                    // 000000002564: 80181838
	s_addc_u32 s25, 0, s25                                     // 000000002568: 82191980
	s_mov_b32 s70, 0                                           // 00000000256C: BEC60080
	s_sub_u32 s71, s50, s45                                    // 000000002570: 80C72D32
	s_mul_i32 s37, s67, s44                                    // 000000002574: 92252C43
	s_mov_b32 s36, s71                                         // 000000002578: BEA40047
	v_cvt_f32_u32_e32 v35, s37                                 // 00000000257C: 7E460C25
	s_sub_i32 s56, 0, s37                                      // 000000002580: 81B82580
	v_rcp_iflag_f32_e32 v35, v35                               // 000000002584: 7E464723
	s_nop 0                                                    // 000000002588: BF800000
	v_mul_f32_e32 v35, 0x4f7ffffe, v35                         // 00000000258C: 0A4646FF 4F7FFFFE
	v_cvt_u32_f32_e32 v35, v35                                 // 000000002594: 7E460F23
	v_mul_lo_u32 v36, s56, v35                                 // 000000002598: D2850024 00024638
	v_mul_hi_u32 v36, v35, v36                                 // 0000000025A0: D2860024 00024923
	v_add_u32_e32 v35, v35, v36                                // 0000000025A8: 68464923
	v_mul_hi_u32 v35, s36, v35                                 // 0000000025AC: D2860023 00024624
	v_mul_lo_u32 v36, v35, s37                                 // 0000000025B4: D2850024 00004B23
	v_sub_u32_e32 v38, s36, v36                                // 0000000025BC: 6A4C4824
	v_add_u32_e32 v37, 1, v35                                  // 0000000025C0: 684A4681
	v_cmp_le_u32_e32 vcc, s37, v38                             // 0000000025C4: 7D964C25
	v_subrev_u32_e32 v36, s37, v38                             // 0000000025C8: 6C484C25
	s_nop 0                                                    // 0000000025CC: BF800000
	v_cndmask_b32_e32 v35, v35, v37, vcc                       // 0000000025D0: 00464B23
	v_cndmask_b32_e32 v38, v38, v36, vcc                       // 0000000025D4: 004C4926
	v_add_u32_e32 v36, 1, v35                                  // 0000000025D8: 68484681
	v_cmp_le_u32_e32 vcc, s37, v38                             // 0000000025DC: 7D964C25
	s_nop 1                                                    // 0000000025E0: BF800001
	v_cndmask_b32_e32 v38, v35, v36, vcc                       // 0000000025E4: 004C4923
	s_nop 3                                                    // 0000000025E8: BF800003
	v_readfirstlane_b32 s38, v38                               // 0000000025EC: 7E4C0526
	s_nop 3                                                    // 0000000025F0: BF800003
	s_mov_b32 s71, s38                                         // 0000000025F4: BEC70026
	s_mul_i32 s56, s71, s37                                    // 0000000025F8: 92382547
	s_sub_u32 s56, s36, s56                                    // 0000000025FC: 80B83824
	s_mov_b32 s57, 0                                           // 000000002600: BEB90080
	s_cmp_lt_u32 s56, s44                                      // 000000002604: BF0A2C38
	s_cselect_b32 s57, s57, 1                                  // 000000002608: 85398139
	s_add_u32 s71, s57, s71                                    // 00000000260C: 80474739
	s_cmpk_eq_u32 s57, 0x1                                     // 000000002610: B4390001
	s_cselect_b32 s49, 0, s56                                  // 000000002614: 85313880
	s_mov_b32 s48, s49                                         // 000000002618: BEB00031
	v_lshrrev_b32_e32 v35, 2, v0                               // 00000000261C: 20460082
	s_mul_i32 s56, s7, 16                                      // 000000002620: 92389007
	v_add_u32_e64 v34, v35, s56                                // 000000002624: D1340022 00007123
	v_add_u32_e32 v34, s45, v34                                // 00000000262C: 6844442D
	v_lshlrev_b32_e32 v34, 2, v34                              // 000000002630: 24444482
	buffer_load_dword v30, v34, s[24:27], 0 offen              // 000000002634: E0501000 80061E22
	v_add_u32_e32 v34, s73, v34                                // 00000000263C: 68444449
	buffer_load_dword v31, v34, s[24:27], 0 offen              // 000000002640: E0501000 80061F22
	v_add_u32_e32 v34, s73, v34                                // 000000002648: 68444449
	s_mul_i32 s56, s79, s74                                    // 00000000264C: 92384A4F
	s_add_u32 s16, s56, s16                                    // 000000002650: 80101038
	s_addc_u32 s17, 0, s17                                     // 000000002654: 82111180
	s_mul_i32 s56, s7, 0x400                                   // 000000002658: 9238FF07 00000400
	s_add_u32 m0, 0x2000, s56                                  // 000000002660: 807C38FF 00002000
	v_and_b32_e32 v35, 3, v0                                   // 000000002668: 26460083
	v_mov_b32_e32 v36, 0                                       // 00000000266C: 7E480280
	s_mov_b32 s56, 0                                           // 000000002670: BEB80080
	s_mov_b32 s57, -1                                          // 000000002674: BEB900C1
	v_cndmask_b32_e64 v37, v36, v35, s[56:57]                  // 000000002678: D1000025 00E24724
	s_nop 2                                                    // 000000002680: BF800002
	v_mov_b32_dpp v37, v37 quad_perm:[2,3,0,1] row_mask:0xf bank_mask:0xf// 000000002684: 7E4A02FA FF004E25
	v_cndmask_b32_e64 v38, v35, v37, s[56:57]                  // 00000000268C: D1000026 00E24B23
	v_lshlrev_b32_e32 v38, 4, v38                              // 000000002694: 244C4C84
	v_mov_b32_e32 v1, v38                                      // 000000002698: 7E020326
	v_lshrrev_b32_e32 v35, 2, v0                               // 00000000269C: 20460082
	s_mov_b32 s56, 0x240                                       // 0000000026A0: BEB800FF 00000240
	v_mul_i32_i24_e64 v35, v35, s56                            // 0000000026A8: D1060023 00007123
	s_mul_i32 s56, s7, 64                                      // 0000000026B0: 9238C007
	v_add_u32_e32 v36, v35, v38                                // 0000000026B4: 68484D23
	v_add_u32_e64 v36, v36, s56                                // 0000000026B8: D1340024 00007124
	buffer_load_dwordx4 v36, s[16:19], 0 offen lds             // 0000000026C0: E05D1000 80040024
	s_add_u32 m0, m0, 0x1000                                   // 0000000026C8: 807CFF7C 00001000
	v_add_u32_e32 v36, 0x100, v36                              // 0000000026D0: 684848FF 00000100
	buffer_load_dwordx4 v36, s[16:19], 0 offen lds             // 0000000026D8: E05D1000 80040024
	s_add_u32 m0, m0, 0x1000                                   // 0000000026E0: 807CFF7C 00001000
	v_add_u32_e32 v36, 0x100, v36                              // 0000000026E8: 684848FF 00000100
	buffer_load_dwordx4 v36, s[16:19], 0 offen lds             // 0000000026F0: E05D1000 80040024
	s_add_u32 m0, m0, 0x1000                                   // 0000000026F8: 807CFF7C 00001000
	v_add_u32_e32 v36, 0x100, v36                              // 000000002700: 684848FF 00000100
	v_add_u32_e32 v36, 0x2100, v36                             // 000000002708: 684848FF 00002100
	buffer_load_dwordx4 v36, s[16:19], 0 offen lds             // 000000002710: E05D1000 80040024
	s_add_u32 m0, m0, 0x1000                                   // 000000002718: 807CFF7C 00001000
	v_add_u32_e32 v36, 0x100, v36                              // 000000002720: 684848FF 00000100
	buffer_load_dwordx4 v36, s[16:19], 0 offen lds             // 000000002728: E05D1000 80040024
	s_add_u32 m0, m0, 0x1000                                   // 000000002730: 807CFF7C 00001000
	v_add_u32_e32 v36, 0x100, v36                              // 000000002738: 684848FF 00000100
	;; [unrolled: 3-line block ×3, first 2 shown]
	v_add_u32_e32 v36, 0x2100, v36                             // 000000002758: 684848FF 00002100
	buffer_load_dwordx4 v36, s[16:19], 0 offen lds             // 000000002760: E05D1000 80040024
	s_add_u32 m0, m0, 0x1000                                   // 000000002768: 807CFF7C 00001000
	v_add_u32_e32 v36, 0x100, v36                              // 000000002770: 684848FF 00000100
	buffer_load_dwordx4 v36, s[16:19], 0 offen lds             // 000000002778: E05D1000 80040024
	s_add_u32 m0, m0, 0x1000                                   // 000000002780: 807CFF7C 00001000
	v_add_u32_e32 v36, 0x100, v36                              // 000000002788: 684848FF 00000100
	buffer_load_dwordx4 v36, s[16:19], 0 offen lds             // 000000002790: E05D1000 80040024
	s_add_u32 m0, m0, 0x1000                                   // 000000002798: 807CFF7C 00001000
	v_add_u32_e32 v36, 0x100, v36                              // 0000000027A0: 684848FF 00000100
	v_add_u32_e32 v36, 0x2100, v36                             // 0000000027A8: 684848FF 00002100
	buffer_load_dwordx4 v36, s[16:19], 0 offen lds             // 0000000027B0: E05D1000 80040024
	s_add_u32 m0, m0, 0x1000                                   // 0000000027B8: 807CFF7C 00001000
	v_add_u32_e32 v36, 0x100, v36                              // 0000000027C0: 684848FF 00000100
	buffer_load_dwordx4 v36, s[16:19], 0 offen lds             // 0000000027C8: E05D1000 80040024
	s_add_u32 m0, m0, 0x1000                                   // 0000000027D0: 807CFF7C 00001000
	v_add_u32_e32 v36, 0x100, v36                              // 0000000027D8: 684848FF 00000100
	buffer_load_dwordx4 v36, s[16:19], 0 offen lds             // 0000000027E0: E05D1000 80040024
	s_add_u32 m0, m0, 0x1000                                   // 0000000027E8: 807CFF7C 00001000
	v_add_u32_e32 v36, 0x100, v36                              // 0000000027F0: 684848FF 00000100
	v_add_u32_e32 v36, 0x2100, v36                             // 0000000027F8: 684848FF 00002100
	s_mov_b32 s52, 0x7060302                                   // 000000002800: BEB400FF 07060302
	s_mov_b32 s53, 0x5040100                                   // 000000002808: BEB500FF 05040100
	s_mul_i32 s51, s7, 4                                       // 000000002810: 92338407
	s_mov_b32 s6, 0x3fb8aa3b                                   // 000000002814: BE8600FF 3FB8AA3B
	v_mov_b32_e32 v36, s6                                      // 00000000281C: 7E480206
	v_mov_b32_e32 v35, s64                                     // 000000002820: 7E460240
	v_mul_f32_e32 v35, s6, v35                                 // 000000002824: 0A464606
	v_rcp_f32_e32 v36, v36                                     // 000000002828: 7E484524
	v_mov_b32_e32 v2, 0xff800000                               // 00000000282C: 7E0402FF FF800000
	v_mov_b32_e32 v21, 0                                       // 000000002834: 7E2A0280
	v_mov_b32_e32 v4, 0                                        // 000000002838: 7E080280
	v_readfirstlane_b32 s5, v35                                // 00000000283C: 7E0A0523
	v_readfirstlane_b32 s63, v36                               // 000000002840: 7E7E0524
	s_waitcnt lgkmcnt(0)                                       // 000000002844: BF8CC07F
	v_mov_b32_e32 v35, s60                                     // 000000002848: 7E46023C
	v_mul_f32_e32 v35, s61, v35                                // 00000000284C: 0A46463D
	v_mul_f32_e32 v36, s5, v35                                 // 000000002850: 0A484605
	v_mul_f32_e32 v38, s64, v35                                // 000000002854: 0A4C4640
	v_readfirstlane_b32 s5, v36                                // 000000002858: 7E0A0524
	v_readfirstlane_b32 s64, v38                               // 00000000285C: 7E800526
	v_and_b32_e32 v35, 15, v0                                  // 000000002860: 2646008F
	v_lshlrev_b32_e32 v35, 4, v35                              // 000000002864: 24464684
	v_and_b32_e32 v36, 31, v0                                  // 000000002868: 2648009F
	v_lshrrev_b32_e32 v36, 4, v36                              // 00000000286C: 20484884
	s_mov_b32 s56, 0xc00                                       // 000000002870: BEB800FF 00000C00
	v_mul_i32_i24_e32 v36, s56, v36                            // 000000002878: 0C484838
	v_add_u32_e32 v222, v35, v36                               // 00000000287C: 69BC4923
	v_mov_b32_e32 v223, v222                                   // 000000002880: 7FBE03DE
	v_and_b32_e32 v35, 15, v0                                  // 000000002884: 2646008F
	v_lshrrev_b32_e32 v35, 3, v35                              // 000000002888: 20464683
	v_lshlrev_b32_e32 v35, 3, v35                              // 00000000288C: 24464683
	v_lshrrev_b32_e32 v36, 5, v0                               // 000000002890: 20480085
	v_lshlrev_b32_e32 v36, 2, v36                              // 000000002894: 24484882
	v_add_u32_e32 v222, v222, v35                              // 000000002898: 69BC47DE
	v_add_u32_e32 v222, v222, v36                              // 00000000289C: 69BC49DE
	v_and_b32_e32 v35, 15, v0                                  // 0000000028A0: 2646008F
	v_lshrrev_b32_e32 v35, 3, v35                              // 0000000028A4: 20464683
	s_mov_b32 s56, 1                                           // 0000000028A8: BEB80081
	v_mov_b32_e32 v36, s56                                     // 0000000028AC: 7E480238
	v_xor_b32_e32 v35, v36, v35                                // 0000000028B0: 2A464724
	v_lshlrev_b32_e32 v35, 3, v35                              // 0000000028B4: 24464683
	v_lshrrev_b32_e32 v36, 5, v0                               // 0000000028B8: 20480085
	v_lshlrev_b32_e32 v36, 2, v36                              // 0000000028BC: 24484882
	v_add_u32_e32 v223, v223, v35                              // 0000000028C0: 69BE47DF
	v_add_u32_e32 v223, v223, v36                              // 0000000028C4: 69BE49DF
	s_mov_b32 s56, 0                                           // 0000000028C8: BEB80080
	v_lshlrev_b32_e32 v222, 2, v222                            // 0000000028CC: 25BDBC82
	v_lshlrev_b32_e32 v223, 2, v223                            // 0000000028D0: 25BFBE82
	s_lshr_b32 s57, s7, 1                                      // 0000000028D4: 8F398107
	s_mul_i32 s56, s57, 0x6000                                 // 0000000028D8: 9238FF39 00006000
	v_add_u32_e32 v222, s56, v222                              // 0000000028E0: 69BDBC38
	v_add_u32_e32 v223, s56, v223                              // 0000000028E4: 69BFBE38
	s_waitcnt vmcnt(0)                                         // 0000000028E8: BF8C0F70
	s_barrier                                                  // 0000000028EC: BF8A0000
	ds_read_b128 a[0:3], v222 offset:8192                      // 0000000028F0: DBFE2000 000000DE
	ds_read_b128 a[8:11], v222 offset:9216                     // 0000000028F8: DBFE2400 080000DE
	ds_read_b128 a[16:19], v222 offset:10240                   // 000000002900: DBFE2800 100000DE
	ds_read_b128 a[24:27], v222 offset:11264                   // 000000002908: DBFE2C00 180000DE
	ds_read_b128 a[32:35], v222 offset:12288                   // 000000002910: DBFE3000 200000DE
	ds_read_b128 a[40:43], v222 offset:13312                   // 000000002918: DBFE3400 280000DE
	ds_read_b128 a[48:51], v222 offset:14336                   // 000000002920: DBFE3800 300000DE
	ds_read_b128 a[56:59], v222 offset:15360                   // 000000002928: DBFE3C00 380000DE
	ds_read_b128 a[64:67], v222 offset:16384                   // 000000002930: DBFE4000 400000DE
	ds_read_b128 a[4:7], v223 offset:8192                      // 000000002938: DBFE2000 040000DF
	ds_read_b128 a[12:15], v223 offset:9216                    // 000000002940: DBFE2400 0C0000DF
	ds_read_b128 a[20:23], v223 offset:10240                   // 000000002948: DBFE2800 140000DF
	ds_read_b128 a[28:31], v223 offset:11264                   // 000000002950: DBFE2C00 1C0000DF
	ds_read_b128 a[36:39], v223 offset:12288                   // 000000002958: DBFE3000 240000DF
	ds_read_b128 a[44:47], v223 offset:13312                   // 000000002960: DBFE3400 2C0000DF
	ds_read_b128 a[52:55], v223 offset:14336                   // 000000002968: DBFE3800 340000DF
	ds_read_b128 a[60:63], v223 offset:15360                   // 000000002970: DBFE3C00 3C0000DF
	ds_read_b128 a[68:71], v223 offset:16384                   // 000000002978: DBFE4000 440000DF
	v_lshlrev_b32_e32 v35, 2, v0                               // 000000002980: 24460082
	s_mov_b32 s56, 0x200                                       // 000000002984: BEB800FF 00000200
	s_lshr_b32 s57, s7, 1                                      // 00000000298C: 8F398107
	s_mul_i32 s56, s57, s56                                    // 000000002990: 92383839
	v_add_u32_e32 v40, s56, v35                                // 000000002994: 68504638
	v_lshlrev_b32_e32 v35, 2, v0                               // 000000002998: 24460082
	s_mov_b32 s56, 0x100                                       // 00000000299C: BEB800FF 00000100
	s_mul_i32 s56, s7, s56                                     // 0000000029A4: 92383807
	v_add_u32_e32 v41, s56, v35                                // 0000000029A8: 68524638
	v_lshlrev_b32_e32 v35, 4, v0                               // 0000000029AC: 24460084
	s_mov_b32 s56, 0x800                                       // 0000000029B0: BEB800FF 00000800
	s_lshr_b32 s57, s7, 1                                      // 0000000029B8: 8F398107
	s_mul_i32 s56, s57, s56                                    // 0000000029BC: 92383839
	v_add_u32_e32 v42, s56, v35                                // 0000000029C0: 68544638
	v_lshlrev_b32_e32 v35, 4, v0                               // 0000000029C4: 24460084
	s_mov_b32 s56, 0x400                                       // 0000000029C8: BEB800FF 00000400
	s_mul_i32 s56, s7, s56                                     // 0000000029D0: 92383807
	v_add_u32_e32 v43, s56, v35                                // 0000000029D4: 68564638
	v_mov_b32_e32 v76, 0                                       // 0000000029D8: 7E980280
	v_mov_b32_e32 v77, 0                                       // 0000000029DC: 7E9A0280
	v_mov_b32_e32 v78, 0                                       // 0000000029E0: 7E9C0280
	v_mov_b32_e32 v79, 0                                       // 0000000029E4: 7E9E0280
	v_mov_b32_e32 v80, 0                                       // 0000000029E8: 7EA00280
	v_mov_b32_e32 v81, 0                                       // 0000000029EC: 7EA20280
	v_mov_b32_e32 v82, 0                                       // 0000000029F0: 7EA40280
	v_mov_b32_e32 v83, 0                                       // 0000000029F4: 7EA60280
	v_mov_b32_e32 v84, 0                                       // 0000000029F8: 7EA80280
	v_mov_b32_e32 v85, 0                                       // 0000000029FC: 7EAA0280
	v_mov_b32_e32 v86, 0                                       // 000000002A00: 7EAC0280
	v_mov_b32_e32 v87, 0                                       // 000000002A04: 7EAE0280
	v_mov_b32_e32 v88, 0                                       // 000000002A08: 7EB00280
	v_mov_b32_e32 v89, 0                                       // 000000002A0C: 7EB20280
	v_mov_b32_e32 v90, 0                                       // 000000002A10: 7EB40280
	v_mov_b32_e32 v91, 0                                       // 000000002A14: 7EB60280
	v_mov_b32_e32 v92, 0                                       // 000000002A18: 7EB80280
	v_mov_b32_e32 v93, 0                                       // 000000002A1C: 7EBA0280
	v_mov_b32_e32 v94, 0                                       // 000000002A20: 7EBC0280
	v_mov_b32_e32 v95, 0                                       // 000000002A24: 7EBE0280
	v_mov_b32_e32 v96, 0                                       // 000000002A28: 7EC00280
	v_mov_b32_e32 v97, 0                                       // 000000002A2C: 7EC20280
	v_mov_b32_e32 v98, 0                                       // 000000002A30: 7EC40280
	v_mov_b32_e32 v99, 0                                       // 000000002A34: 7EC60280
	v_mov_b32_e32 v100, 0                                      // 000000002A38: 7EC80280
	v_mov_b32_e32 v101, 0                                      // 000000002A3C: 7ECA0280
	v_mov_b32_e32 v102, 0                                      // 000000002A40: 7ECC0280
	v_mov_b32_e32 v103, 0                                      // 000000002A44: 7ECE0280
	v_mov_b32_e32 v104, 0                                      // 000000002A48: 7ED00280
	v_mov_b32_e32 v105, 0                                      // 000000002A4C: 7ED20280
	v_mov_b32_e32 v106, 0                                      // 000000002A50: 7ED40280
	v_mov_b32_e32 v107, 0                                      // 000000002A54: 7ED60280
	v_mov_b32_e32 v108, 0                                      // 000000002A58: 7ED80280
	v_mov_b32_e32 v109, 0                                      // 000000002A5C: 7EDA0280
	v_mov_b32_e32 v110, 0                                      // 000000002A60: 7EDC0280
	v_mov_b32_e32 v111, 0                                      // 000000002A64: 7EDE0280
	v_mov_b32_e32 v112, 0                                      // 000000002A68: 7EE00280
	v_mov_b32_e32 v113, 0                                      // 000000002A6C: 7EE20280
	v_mov_b32_e32 v114, 0                                      // 000000002A70: 7EE40280
	v_mov_b32_e32 v115, 0                                      // 000000002A74: 7EE60280
	v_mov_b32_e32 v116, 0                                      // 000000002A78: 7EE80280
	v_mov_b32_e32 v117, 0                                      // 000000002A7C: 7EEA0280
	v_mov_b32_e32 v118, 0                                      // 000000002A80: 7EEC0280
	v_mov_b32_e32 v119, 0                                      // 000000002A84: 7EEE0280
	v_mov_b32_e32 v120, 0                                      // 000000002A88: 7EF00280
	v_mov_b32_e32 v121, 0                                      // 000000002A8C: 7EF20280
	v_mov_b32_e32 v122, 0                                      // 000000002A90: 7EF40280
	v_mov_b32_e32 v123, 0                                      // 000000002A94: 7EF60280
	v_mov_b32_e32 v124, 0                                      // 000000002A98: 7EF80280
	v_mov_b32_e32 v125, 0                                      // 000000002A9C: 7EFA0280
	v_mov_b32_e32 v126, 0                                      // 000000002AA0: 7EFC0280
	v_mov_b32_e32 v127, 0                                      // 000000002AA4: 7EFE0280
	v_mov_b32_e32 v128, 0                                      // 000000002AA8: 7F000280
	v_mov_b32_e32 v129, 0                                      // 000000002AAC: 7F020280
	v_mov_b32_e32 v130, 0                                      // 000000002AB0: 7F040280
	v_mov_b32_e32 v131, 0                                      // 000000002AB4: 7F060280
	v_mov_b32_e32 v132, 0                                      // 000000002AB8: 7F080280
	v_mov_b32_e32 v133, 0                                      // 000000002ABC: 7F0A0280
	v_mov_b32_e32 v134, 0                                      // 000000002AC0: 7F0C0280
	v_mov_b32_e32 v135, 0                                      // 000000002AC4: 7F0E0280
	v_mov_b32_e32 v136, 0                                      // 000000002AC8: 7F100280
	v_mov_b32_e32 v137, 0                                      // 000000002ACC: 7F120280
	v_mov_b32_e32 v138, 0                                      // 000000002AD0: 7F140280
	v_mov_b32_e32 v139, 0                                      // 000000002AD4: 7F160280
	v_mov_b32_e32 v140, 0                                      // 000000002AD8: 7F180280
	v_mov_b32_e32 v141, 0                                      // 000000002ADC: 7F1A0280
	v_mov_b32_e32 v142, 0                                      // 000000002AE0: 7F1C0280
	v_mov_b32_e32 v143, 0                                      // 000000002AE4: 7F1E0280
	v_mov_b32_e32 v144, 0                                      // 000000002AE8: 7F200280
	v_mov_b32_e32 v145, 0                                      // 000000002AEC: 7F220280
	v_mov_b32_e32 v146, 0                                      // 000000002AF0: 7F240280
	v_mov_b32_e32 v147, 0                                      // 000000002AF4: 7F260280
	v_mov_b32_e32 v148, 0                                      // 000000002AF8: 7F280280
	v_mov_b32_e32 v149, 0                                      // 000000002AFC: 7F2A0280
	v_mov_b32_e32 v150, 0                                      // 000000002B00: 7F2C0280
	v_mov_b32_e32 v151, 0                                      // 000000002B04: 7F2E0280
	v_mov_b32_e32 v152, 0                                      // 000000002B08: 7F300280
	v_mov_b32_e32 v153, 0                                      // 000000002B0C: 7F320280
	v_mov_b32_e32 v154, 0                                      // 000000002B10: 7F340280
	v_mov_b32_e32 v155, 0                                      // 000000002B14: 7F360280
	v_mov_b32_e32 v156, 0                                      // 000000002B18: 7F380280
	v_mov_b32_e32 v157, 0                                      // 000000002B1C: 7F3A0280
	v_mov_b32_e32 v158, 0                                      // 000000002B20: 7F3C0280
	v_mov_b32_e32 v159, 0                                      // 000000002B24: 7F3E0280
	v_mov_b32_e32 v160, 0                                      // 000000002B28: 7F400280
	v_mov_b32_e32 v161, 0                                      // 000000002B2C: 7F420280
	v_mov_b32_e32 v162, 0                                      // 000000002B30: 7F440280
	v_mov_b32_e32 v163, 0                                      // 000000002B34: 7F460280
	v_mov_b32_e32 v164, 0                                      // 000000002B38: 7F480280
	v_mov_b32_e32 v165, 0                                      // 000000002B3C: 7F4A0280
	v_mov_b32_e32 v166, 0                                      // 000000002B40: 7F4C0280
	v_mov_b32_e32 v167, 0                                      // 000000002B44: 7F4E0280
	v_mov_b32_e32 v168, 0                                      // 000000002B48: 7F500280
	v_mov_b32_e32 v169, 0                                      // 000000002B4C: 7F520280
	v_mov_b32_e32 v170, 0                                      // 000000002B50: 7F540280
	v_mov_b32_e32 v171, 0                                      // 000000002B54: 7F560280
	v_mov_b32_e32 v172, 0                                      // 000000002B58: 7F580280
	v_mov_b32_e32 v173, 0                                      // 000000002B5C: 7F5A0280
	v_mov_b32_e32 v174, 0                                      // 000000002B60: 7F5C0280
	v_mov_b32_e32 v175, 0                                      // 000000002B64: 7F5E0280
	v_mov_b32_e32 v176, 0                                      // 000000002B68: 7F600280
	v_mov_b32_e32 v177, 0                                      // 000000002B6C: 7F620280
	v_mov_b32_e32 v178, 0                                      // 000000002B70: 7F640280
	v_mov_b32_e32 v179, 0                                      // 000000002B74: 7F660280
	v_mov_b32_e32 v180, 0                                      // 000000002B78: 7F680280
	v_mov_b32_e32 v181, 0                                      // 000000002B7C: 7F6A0280
	v_mov_b32_e32 v182, 0                                      // 000000002B80: 7F6C0280
	v_mov_b32_e32 v183, 0                                      // 000000002B84: 7F6E0280
	v_mov_b32_e32 v184, 0                                      // 000000002B88: 7F700280
	v_mov_b32_e32 v185, 0                                      // 000000002B8C: 7F720280
	v_mov_b32_e32 v186, 0                                      // 000000002B90: 7F740280
	v_mov_b32_e32 v187, 0                                      // 000000002B94: 7F760280
	v_mov_b32_e32 v188, 0                                      // 000000002B98: 7F780280
	v_mov_b32_e32 v189, 0                                      // 000000002B9C: 7F7A0280
	v_mov_b32_e32 v190, 0                                      // 000000002BA0: 7F7C0280
	v_mov_b32_e32 v191, 0                                      // 000000002BA4: 7F7E0280
	v_mov_b32_e32 v192, 0                                      // 000000002BA8: 7F800280
	v_mov_b32_e32 v193, 0                                      // 000000002BAC: 7F820280
	v_mov_b32_e32 v194, 0                                      // 000000002BB0: 7F840280
	v_mov_b32_e32 v195, 0                                      // 000000002BB4: 7F860280
	v_mov_b32_e32 v196, 0                                      // 000000002BB8: 7F880280
	v_mov_b32_e32 v197, 0                                      // 000000002BBC: 7F8A0280
	v_mov_b32_e32 v198, 0                                      // 000000002BC0: 7F8C0280
	v_mov_b32_e32 v199, 0                                      // 000000002BC4: 7F8E0280
	v_mov_b32_e32 v200, 0                                      // 000000002BC8: 7F900280
	v_mov_b32_e32 v201, 0                                      // 000000002BCC: 7F920280
	v_mov_b32_e32 v202, 0                                      // 000000002BD0: 7F940280
	v_mov_b32_e32 v203, 0                                      // 000000002BD4: 7F960280
	s_waitcnt lgkmcnt(0)                                       // 000000002BD8: BF8CC07F
	v_mul_u32_u24_e64 v217, v30, s68                           // 000000002BDC: D10800D9 0000891E
	v_add_u32_e32 v217, v217, v1                               // 000000002BE4: 69B203D9
	s_mov_b32 s56, 0xb000                                      // 000000002BE8: BEB800FF 0000B000
	s_mul_i32 s57, s7, 0x2400                                  // 000000002BF0: 9239FF07 00002400
	s_add_u32 m0, s56, s57                                     // 000000002BF8: 807C3938
	buffer_load_dwordx4 v217, s[20:23], 0 offen lds            // 000000002BFC: E05D1000 800500D9
	s_add_i32 m0, m0, 0x3c0                                    // 000000002C04: 817CFF7C 000003C0
	buffer_load_dwordx4 v217, s[20:23], 0 offen offset:64 lds  // 000000002C0C: E05D1040 800500D9
	s_add_i32 m0, m0, 0x3c0                                    // 000000002C14: 817CFF7C 000003C0
	buffer_load_dwordx4 v217, s[20:23], 0 offen offset:128 lds // 000000002C1C: E05D1080 800500D9
	s_add_i32 m0, m0, 0x3c0                                    // 000000002C24: 817CFF7C 000003C0
	buffer_load_dwordx4 v217, s[20:23], 0 offen offset:192 lds // 000000002C2C: E05D10C0 800500D9
	s_add_i32 m0, m0, 0x3c0                                    // 000000002C34: 817CFF7C 000003C0
	buffer_load_dwordx4 v217, s[20:23], 0 offen offset:256 lds // 000000002C3C: E05D1100 800500D9
	s_add_i32 m0, m0, 0x3c0                                    // 000000002C44: 817CFF7C 000003C0
	buffer_load_dwordx4 v217, s[20:23], 0 offen offset:320 lds // 000000002C4C: E05D1140 800500D9
	s_add_i32 m0, m0, 0x3c0                                    // 000000002C54: 817CFF7C 000003C0
	buffer_load_dwordx4 v217, s[20:23], 0 offen offset:384 lds // 000000002C5C: E05D1180 800500D9
	s_add_i32 m0, m0, 0x3c0                                    // 000000002C64: 817CFF7C 000003C0
	buffer_load_dwordx4 v217, s[20:23], 0 offen offset:448 lds // 000000002C6C: E05D11C0 800500D9
	s_add_i32 m0, m0, 0x3c0                                    // 000000002C74: 817CFF7C 000003C0
	buffer_load_dwordx4 v217, s[20:23], 0 offen offset:512 lds // 000000002C7C: E05D1200 800500D9
	s_add_i32 m0, m0, 0x3c0                                    // 000000002C84: 817CFF7C 000003C0
	buffer_load_dword v32, v34, s[24:27], 0 offen              // 000000002C8C: E0501000 80062022
	v_add_u32_e32 v34, s73, v34                                // 000000002C94: 68444449
	v_and_b32_e32 v35, 15, v0                                  // 000000002C98: 2646008F
	v_lshlrev_b32_e32 v35, 4, v35                              // 000000002C9C: 24464684
	v_and_b32_e32 v36, 31, v0                                  // 000000002CA0: 2648009F
	v_lshrrev_b32_e32 v36, 4, v36                              // 000000002CA4: 20484884
	s_mov_b32 s56, 0x900                                       // 000000002CA8: BEB800FF 00000900
	v_mul_i32_i24_e32 v36, s56, v36                            // 000000002CB0: 0C484838
	v_add_u32_e32 v22, v35, v36                                // 000000002CB4: 682C4923
	v_mov_b32_e32 v23, v22                                     // 000000002CB8: 7E2E0316
	v_and_b32_e32 v35, 15, v0                                  // 000000002CBC: 2646008F
	v_lshrrev_b32_e32 v35, 3, v35                              // 000000002CC0: 20464683
	v_lshlrev_b32_e32 v35, 3, v35                              // 000000002CC4: 24464683
	v_lshrrev_b32_e32 v36, 5, v0                               // 000000002CC8: 20480085
	v_lshlrev_b32_e32 v36, 2, v36                              // 000000002CCC: 24484882
	v_add_u32_e32 v22, v22, v35                                // 000000002CD0: 682C4716
	v_add_u32_e32 v22, v22, v36                                // 000000002CD4: 682C4916
	v_and_b32_e32 v35, 15, v0                                  // 000000002CD8: 2646008F
	v_lshrrev_b32_e32 v35, 3, v35                              // 000000002CDC: 20464683
	s_mov_b32 s56, 1                                           // 000000002CE0: BEB80081
	v_mov_b32_e32 v36, s56                                     // 000000002CE4: 7E480238
	v_xor_b32_e32 v35, v36, v35                                // 000000002CE8: 2A464724
	v_lshlrev_b32_e32 v35, 3, v35                              // 000000002CEC: 24464683
	v_lshrrev_b32_e32 v36, 5, v0                               // 000000002CF0: 20480085
	v_lshlrev_b32_e32 v36, 2, v36                              // 000000002CF4: 24484882
	v_add_u32_e32 v23, v23, v35                                // 000000002CF8: 682E4717
	v_add_u32_e32 v23, v23, v36                                // 000000002CFC: 682E4917
	s_mov_b32 s56, 0                                           // 000000002D00: BEB80080
	v_lshlrev_b32_e32 v22, 2, v22                              // 000000002D04: 242C2C82
	v_lshlrev_b32_e32 v23, 2, v23                              // 000000002D08: 242E2E82
	s_and_b32 s56, s7, 1                                       // 000000002D0C: 86388107
	s_mov_b32 s57, 0x4800                                      // 000000002D10: BEB900FF 00004800
	s_mul_i32 s56, s57, s56                                    // 000000002D18: 92383839
	v_add_u32_e32 v22, s56, v22                                // 000000002D1C: 682C2C38
	v_add_u32_e32 v23, s56, v23                                // 000000002D20: 682E2E38
	s_mov_b32 s56, 0x2000                                      // 000000002D24: BEB800FF 00002000
	v_add_u32_e32 v22, s56, v22                                // 000000002D2C: 682C2C38
	v_add_u32_e32 v23, s56, v23                                // 000000002D30: 682E2E38
	s_mov_b32 s57, 0x9000                                      // 000000002D34: BEB900FF 00009000
	v_add_u32_e32 v24, s57, v22                                // 000000002D3C: 68302C39
	v_add_u32_e32 v25, s57, v23                                // 000000002D40: 68322E39
	v_add_u32_e32 v26, s57, v24                                // 000000002D44: 68343039
	v_add_u32_e32 v27, s57, v25                                // 000000002D48: 68363239
	v_add_u32_e32 v28, s57, v26                                // 000000002D4C: 68383439
	v_add_u32_e32 v29, s57, v27                                // 000000002D50: 683A3639
	v_and_b32_e32 v35, 15, v0                                  // 000000002D54: 2646008F
	v_lshrrev_b32_e32 v35, 1, v35                              // 000000002D58: 20464681
	v_lshlrev_b32_e32 v35, 4, v35                              // 000000002D5C: 24464684
	v_and_b32_e32 v36, 1, v0                                   // 000000002D60: 26480081
	v_lshlrev_b32_e32 v36, 1, v36                              // 000000002D64: 24484881
	v_and_b32_e32 v37, 31, v0                                  // 000000002D68: 264A009F
	v_lshrrev_b32_e32 v37, 4, v37                              // 000000002D6C: 204A4A84
	v_lshlrev_b32_e32 v37, 2, v37                              // 000000002D70: 244A4A82
	v_lshrrev_b32_e32 v38, 5, v0                               // 000000002D74: 204C0085
	s_mov_b32 s56, 0x900                                       // 000000002D78: BEB800FF 00000900
	v_mul_i32_i24_e32 v38, s56, v38                            // 000000002D80: 0C4C4C38
	v_add_u32_e32 v5, v35, v36                                 // 000000002D84: 680A4923
	v_add_u32_e32 v5, v37, v5                                  // 000000002D88: 680A0B25
	v_add_u32_e32 v5, v38, v5                                  // 000000002D8C: 680A0B26
	s_mov_b32 s56, 0x88                                        // 000000002D90: BEB800FF 00000088
	v_add_u32_e32 v6, s56, v5                                  // 000000002D98: 680C0A38
	s_mov_b32 s56, 8                                           // 000000002D9C: BEB80088
	v_add_u32_e32 v7, s56, v5                                  // 000000002DA0: 680E0A38
	s_mov_b32 s56, 0x80                                        // 000000002DA4: BEB800FF 00000080
	v_add_u32_e32 v8, s56, v5                                  // 000000002DAC: 68100A38
	v_lshlrev_b32_e32 v5, 2, v5                                // 000000002DB0: 240A0A82
	v_lshlrev_b32_e32 v6, 2, v6                                // 000000002DB4: 240C0C82
	v_lshlrev_b32_e32 v7, 2, v7                                // 000000002DB8: 240E0E82
	v_lshlrev_b32_e32 v8, 2, v8                                // 000000002DBC: 24101082
	s_and_b32 s56, s7, 1                                       // 000000002DC0: 86388107
	s_mov_b32 s57, 0x1000                                      // 000000002DC4: BEB900FF 00001000
	s_mul_i32 s56, s56, s57                                    // 000000002DCC: 92383938
	v_add_u32_e32 v5, s56, v5                                  // 000000002DD0: 680A0A38
	v_add_u32_e32 v6, s56, v6                                  // 000000002DD4: 680C0C38
	v_add_u32_e32 v7, s56, v7                                  // 000000002DD8: 680E0E38
	v_add_u32_e32 v8, s56, v8                                  // 000000002DDC: 68101038
	s_mov_b32 s56, 0x2000                                      // 000000002DE0: BEB800FF 00002000
	v_add_u32_e32 v5, s56, v5                                  // 000000002DE8: 680A0A38
	v_add_u32_e32 v6, s56, v6                                  // 000000002DEC: 680C0C38
	v_add_u32_e32 v7, s56, v7                                  // 000000002DF0: 680E0E38
	v_add_u32_e32 v8, s56, v8                                  // 000000002DF4: 68101038
	s_mov_b32 s56, 0x9000                                      // 000000002DF8: BEB800FF 00009000
	v_add_u32_e32 v9, s56, v5                                  // 000000002E00: 68120A38
	v_add_u32_e32 v10, s56, v6                                 // 000000002E04: 68140C38
	v_add_u32_e32 v11, s56, v7                                 // 000000002E08: 68160E38
	v_add_u32_e32 v12, s56, v8                                 // 000000002E0C: 68181038
	v_add_u32_e32 v13, s56, v9                                 // 000000002E10: 681A1238
	v_add_u32_e32 v14, s56, v10                                // 000000002E14: 681C1438
	v_add_u32_e32 v15, s56, v11                                // 000000002E18: 681E1638
	v_add_u32_e32 v16, s56, v12                                // 000000002E1C: 68201838
	v_add_u32_e32 v17, s56, v13                                // 000000002E20: 68221A38
	v_add_u32_e32 v18, s56, v14                                // 000000002E24: 68241C38
	v_add_u32_e32 v19, s56, v15                                // 000000002E28: 68261E38
	v_add_u32_e32 v20, s56, v16                                // 000000002E2C: 68282038
	v_mul_u32_u24_e64 v217, v31, s68                           // 000000002E30: D10800D9 0000891F
	v_add_u32_e32 v217, v217, v1                               // 000000002E38: 69B203D9
	s_mov_b32 s56, 0x14000                                     // 000000002E3C: BEB800FF 00014000
	s_mul_i32 s57, s7, 0x2400                                  // 000000002E44: 9239FF07 00002400
	s_add_u32 m0, s56, s57                                     // 000000002E4C: 807C3938
	buffer_load_dwordx4 v217, s[20:23], 0 offen lds            // 000000002E50: E05D1000 800500D9
	s_add_i32 m0, m0, 0x3c0                                    // 000000002E58: 817CFF7C 000003C0
	buffer_load_dwordx4 v217, s[20:23], 0 offen offset:64 lds  // 000000002E60: E05D1040 800500D9
	s_add_i32 m0, m0, 0x3c0                                    // 000000002E68: 817CFF7C 000003C0
	buffer_load_dwordx4 v217, s[20:23], 0 offen offset:128 lds // 000000002E70: E05D1080 800500D9
	s_add_i32 m0, m0, 0x3c0                                    // 000000002E78: 817CFF7C 000003C0
	buffer_load_dwordx4 v217, s[20:23], 0 offen offset:192 lds // 000000002E80: E05D10C0 800500D9
	s_add_i32 m0, m0, 0x3c0                                    // 000000002E88: 817CFF7C 000003C0
	buffer_load_dwordx4 v217, s[20:23], 0 offen offset:256 lds // 000000002E90: E05D1100 800500D9
	s_add_i32 m0, m0, 0x3c0                                    // 000000002E98: 817CFF7C 000003C0
	buffer_load_dwordx4 v217, s[20:23], 0 offen offset:320 lds // 000000002EA0: E05D1140 800500D9
	s_add_i32 m0, m0, 0x3c0                                    // 000000002EA8: 817CFF7C 000003C0
	buffer_load_dwordx4 v217, s[20:23], 0 offen offset:384 lds // 000000002EB0: E05D1180 800500D9
	s_add_i32 m0, m0, 0x3c0                                    // 000000002EB8: 817CFF7C 000003C0
	buffer_load_dwordx4 v217, s[20:23], 0 offen offset:448 lds // 000000002EC0: E05D11C0 800500D9
	s_add_i32 m0, m0, 0x3c0                                    // 000000002EC8: 817CFF7C 000003C0
	buffer_load_dwordx4 v217, s[20:23], 0 offen offset:512 lds // 000000002ED0: E05D1200 800500D9
	s_add_i32 m0, m0, 0x3c0                                    // 000000002ED8: 817CFF7C 000003C0
	buffer_load_dword v33, v34, s[24:27], 0 offen              // 000000002EE0: E0501000 80062122
	v_add_u32_e32 v34, s73, v34                                // 000000002EE8: 68444449
	s_waitcnt vmcnt(10)                                        // 000000002EEC: BF8C0F7A
	s_barrier                                                  // 000000002EF0: BF8A0000
	s_waitcnt lgkmcnt(0)                                       // 000000002EF4: BF8CC07F
	ds_read_b128 a[72:75], v24                                 // 000000002EF8: DBFE0000 48000018
	ds_read_b128 a[76:79], v25                                 // 000000002F00: DBFE0000 4C000019
	ds_read_b128 a[80:83], v24 offset:1024                     // 000000002F08: DBFE0400 50000018
	ds_read_b128 a[84:87], v25 offset:1024                     // 000000002F10: DBFE0400 54000019
	ds_read_b128 a[88:91], v24 offset:2048                     // 000000002F18: DBFE0800 58000018
	ds_read_b128 a[92:95], v25 offset:2048                     // 000000002F20: DBFE0800 5C000019
	ds_read_b128 a[96:99], v24 offset:3072                     // 000000002F28: DBFE0C00 60000018
	ds_read_b128 a[100:103], v25 offset:3072                   // 000000002F30: DBFE0C00 64000019
	ds_read_b128 a[104:107], v24 offset:4096                   // 000000002F38: DBFE1000 68000018
	ds_read_b128 a[108:111], v25 offset:4096                   // 000000002F40: DBFE1000 6C000019
	ds_read_b128 a[112:115], v24 offset:5120                   // 000000002F48: DBFE1400 70000018
	ds_read_b128 a[116:119], v25 offset:5120                   // 000000002F50: DBFE1400 74000019
	ds_read_b128 a[120:123], v24 offset:6144                   // 000000002F58: DBFE1800 78000018
	ds_read_b128 a[124:127], v25 offset:6144                   // 000000002F60: DBFE1800 7C000019
	ds_read_b128 a[128:131], v24 offset:7168                   // 000000002F68: DBFE1C00 80000018
	ds_read_b128 a[132:135], v25 offset:7168                   // 000000002F70: DBFE1C00 84000019
	ds_read_b128 a[136:139], v24 offset:8192                   // 000000002F78: DBFE2000 88000018
	ds_read_b128 a[140:143], v25 offset:8192                   // 000000002F80: DBFE2000 8C000019
	s_cmp_lt_u32 s71, 1                                        // 000000002F88: BF0A8147
	s_cbranch_scc1 label_6C18                                  // 000000002F8C: BF8517E2
	s_waitcnt lgkmcnt(4)                                       // 000000002F90: BF8CC47F
	s_waitcnt vmcnt(0)                                         // 000000002F94: BF8C0F70
	s_barrier                                                  // 000000002F98: BF8A0000
	v_mfma_f32_32x32x64_f8f6f4 v[44:59], a[72:79], a[0:7], 0   // 000000002F9C: D3AE002C 1A020148
	v_mul_u32_u24_e64 v217, v32, s68                           // 000000002FA4: D10800D9 00008920
	v_add_u32_e32 v217, v217, v1                               // 000000002FAC: 69B203D9
	buffer_load_dword v30, v34, s[24:27], 0 offen              // 000000002FB0: E0501000 80061E22
	ds_read_b128 a[72:75], v26                                 // 000000002FB8: DBFE0000 4800001A
	ds_read_b128 a[76:79], v27                                 // 000000002FC0: DBFE0000 4C00001B
	v_mfma_f32_32x32x64_f8f6f4 v[44:59], a[80:87], a[8:15], v[44:59]// 000000002FC8: D3AE002C 1CB21150
	s_mov_b32 s56, 0x1d000                                     // 000000002FD0: BEB800FF 0001D000
	s_mul_i32 s57, s7, 0x2400                                  // 000000002FD8: 9239FF07 00002400
	s_add_u32 m0, s56, s57                                     // 000000002FE0: 807C3938
	buffer_load_dwordx4 v217, s[20:23], 0 offen lds            // 000000002FE4: E05D1000 800500D9
	s_add_i32 m0, m0, 0x3c0                                    // 000000002FEC: 817CFF7C 000003C0
	ds_read_b128 a[80:83], v26 offset:1024                     // 000000002FF4: DBFE0400 5000001A
	ds_read_b128 a[84:87], v27 offset:1024                     // 000000002FFC: DBFE0400 5400001B
	v_mfma_f32_32x32x64_f8f6f4 v[44:59], a[88:95], a[16:23], v[44:59]// 000000003004: D3AE002C 1CB22158
	ds_read_b128 a[88:91], v26 offset:2048                     // 00000000300C: DBFE0800 5800001A
	ds_read_b128 a[92:95], v27 offset:2048                     // 000000003014: DBFE0800 5C00001B
	v_mfma_f32_32x32x64_f8f6f4 v[44:59], a[96:103], a[24:31], v[44:59]// 00000000301C: D3AE002C 1CB23160
	buffer_load_dwordx4 v217, s[20:23], 0 offen offset:64 lds  // 000000003024: E05D1040 800500D9
	s_add_i32 m0, m0, 0x3c0                                    // 00000000302C: 817CFF7C 000003C0
	ds_read_b128 a[96:99], v26 offset:3072                     // 000000003034: DBFE0C00 6000001A
	ds_read_b128 a[100:103], v27 offset:3072                   // 00000000303C: DBFE0C00 6400001B
	v_mfma_f32_32x32x64_f8f6f4 v[44:59], a[104:111], a[32:39], v[44:59]// 000000003044: D3AE002C 1CB24168
	ds_read_b128 a[104:107], v26 offset:4096                   // 00000000304C: DBFE1000 6800001A
	ds_read_b128 a[108:111], v27 offset:4096                   // 000000003054: DBFE1000 6C00001B
	v_mfma_f32_32x32x64_f8f6f4 v[44:59], a[112:119], a[40:47], v[44:59]// 00000000305C: D3AE002C 1CB25170
	buffer_load_dwordx4 v217, s[20:23], 0 offen offset:128 lds // 000000003064: E05D1080 800500D9
	s_add_i32 m0, m0, 0x3c0                                    // 00000000306C: 817CFF7C 000003C0
	ds_read_b128 a[112:115], v26 offset:5120                   // 000000003074: DBFE1400 7000001A
	ds_read_b128 a[116:119], v27 offset:5120                   // 00000000307C: DBFE1400 7400001B
	v_mfma_f32_32x32x64_f8f6f4 v[44:59], a[120:127], a[48:55], v[44:59]// 000000003084: D3AE002C 1CB26178
	ds_read_b128 a[120:123], v26 offset:6144                   // 00000000308C: DBFE1800 7800001A
	ds_read_b128 a[124:127], v27 offset:6144                   // 000000003094: DBFE1800 7C00001B
	v_mfma_f32_32x32x64_f8f6f4 v[44:59], a[128:135], a[56:63], v[44:59]// 00000000309C: D3AE002C 1CB27180
	buffer_load_dwordx4 v217, s[20:23], 0 offen offset:192 lds // 0000000030A4: E05D10C0 800500D9
	s_add_i32 m0, m0, 0x3c0                                    // 0000000030AC: 817CFF7C 000003C0
	ds_read_b128 a[128:131], v26 offset:7168                   // 0000000030B4: DBFE1C00 8000001A
	ds_read_b128 a[132:135], v27 offset:7168                   // 0000000030BC: DBFE1C00 8400001B
	v_mfma_f32_32x32x64_f8f6f4 v[44:59], a[136:143], a[64:71], v[44:59]// 0000000030C4: D3AE002C 1CB28188
	ds_read_b128 a[136:139], v26 offset:8192                   // 0000000030CC: DBFE2000 8800001A
	ds_read_b128 a[140:143], v27 offset:8192                   // 0000000030D4: DBFE2000 8C00001B
	buffer_load_dwordx4 v217, s[20:23], 0 offen offset:256 lds // 0000000030DC: E05D1100 800500D9
	s_add_i32 m0, m0, 0x3c0                                    // 0000000030E4: 817CFF7C 000003C0
	buffer_load_dwordx4 v217, s[20:23], 0 offen offset:320 lds // 0000000030EC: E05D1140 800500D9
	s_add_i32 m0, m0, 0x3c0                                    // 0000000030F4: 817CFF7C 000003C0
	buffer_load_dwordx4 v217, s[20:23], 0 offen offset:384 lds // 0000000030FC: E05D1180 800500D9
	s_add_i32 m0, m0, 0x3c0                                    // 000000003104: 817CFF7C 000003C0
	buffer_load_dwordx4 v217, s[20:23], 0 offen offset:448 lds // 00000000310C: E05D11C0 800500D9
	s_add_i32 m0, m0, 0x3c0                                    // 000000003114: 817CFF7C 000003C0
	buffer_load_dwordx4 v217, s[20:23], 0 offen offset:512 lds // 00000000311C: E05D1200 800500D9
	s_add_i32 m0, m0, 0x3c0                                    // 000000003124: 817CFF7C 000003C0
	v_add_u32_e32 v34, s73, v34                                // 00000000312C: 68444449
	s_nop 2                                                    // 000000003130: BF800002
	v_mov_b32_e32 v213, v44                                    // 000000003134: 7FAA032C
	v_max3_f32 v213, v44, v45, v213                            // 000000003138: D1D300D5 07565B2C
	v_max3_f32 v213, v46, v47, v213                            // 000000003140: D1D300D5 07565F2E
	v_max3_f32 v213, v48, v49, v213                            // 000000003148: D1D300D5 07566330
	v_max3_f32 v213, v50, v51, v213                            // 000000003150: D1D300D5 07566732
	v_max3_f32 v213, v52, v53, v213                            // 000000003158: D1D300D5 07566B34
	v_max3_f32 v213, v54, v55, v213                            // 000000003160: D1D300D5 07566F36
	v_max3_f32 v213, v56, v57, v213                            // 000000003168: D1D300D5 07567338
	v_max3_f32 v213, v58, v59, v213                            // 000000003170: D1D300D5 0756773A
	v_mov_b32_e32 v35, v213                                    // 000000003178: 7E4603D5
	v_mov_b32_e32 v36, v213                                    // 00000000317C: 7E4803D5
	s_nop 1                                                    // 000000003180: BF800001
	v_permlane32_swap_b32_e32 v35, v36                         // 000000003184: 7E46B524
	v_max3_f32 v213, v35, v36, v213                            // 000000003188: D1D300D5 07564923
	ds_write_b32 v41, v213                                     // 000000003190: D81A0000 0000D529
	s_waitcnt lgkmcnt(0)                                       // 000000003198: BF8CC07F
	s_barrier                                                  // 00000000319C: BF8A0000
	ds_read_b32 v35, v40                                       // 0000000031A0: D86C0000 23000028
	ds_read_b32 v36, v40 offset:256                            // 0000000031A8: D86C0100 24000028
	s_waitcnt lgkmcnt(0)                                       // 0000000031B0: BF8CC07F
	v_max3_f32 v213, v35, v36, v213                            // 0000000031B4: D1D300D5 07564923
	v_mov_b32_e32 v35, 0xff800000                              // 0000000031BC: 7E4602FF FF800000
	v_cmp_eq_u32_e64 s[36:37], v35, v2                         // 0000000031C4: D0CA0024 00020523
	v_max_f32_e32 v216, v213, v2                               // 0000000031CC: 17B005D5
	v_sub_f32_e32 v21, v2, v216                                // 0000000031D0: 042BB102
	v_cndmask_b32_e64 v21, v21, 0, s[36:37]                    // 0000000031D4: D1000015 00910115
	v_mov_b32_e32 v2, v216                                     // 0000000031DC: 7E0403D8
	v_mul_f32_e32 v212, s5, v216                               // 0000000031E0: 0BA9B005
	v_mul_f32_e32 v21, s5, v21                                 // 0000000031E4: 0A2A2A05
	v_exp_f32_e32 v21, v21                                     // 0000000031E8: 7E2A4115
	v_fma_f32 v44, v44, s5, -v212                              // 0000000031EC: D1CB002C 87500B2C
	v_fma_f32 v45, v45, s5, -v212                              // 0000000031F4: D1CB002D 87500B2D
	v_fma_f32 v46, v46, s5, -v212                              // 0000000031FC: D1CB002E 87500B2E
	v_fma_f32 v47, v47, s5, -v212                              // 000000003204: D1CB002F 87500B2F
	v_fma_f32 v48, v48, s5, -v212                              // 00000000320C: D1CB0030 87500B30
	v_fma_f32 v49, v49, s5, -v212                              // 000000003214: D1CB0031 87500B31
	v_fma_f32 v50, v50, s5, -v212                              // 00000000321C: D1CB0032 87500B32
	v_fma_f32 v51, v51, s5, -v212                              // 000000003224: D1CB0033 87500B33
	v_fma_f32 v52, v52, s5, -v212                              // 00000000322C: D1CB0034 87500B34
	v_fma_f32 v53, v53, s5, -v212                              // 000000003234: D1CB0035 87500B35
	v_fma_f32 v54, v54, s5, -v212                              // 00000000323C: D1CB0036 87500B36
	v_fma_f32 v55, v55, s5, -v212                              // 000000003244: D1CB0037 87500B37
	v_fma_f32 v56, v56, s5, -v212                              // 00000000324C: D1CB0038 87500B38
	v_fma_f32 v57, v57, s5, -v212                              // 000000003254: D1CB0039 87500B39
	v_fma_f32 v58, v58, s5, -v212                              // 00000000325C: D1CB003A 87500B3A
	v_fma_f32 v59, v59, s5, -v212                              // 000000003264: D1CB003B 87500B3B
	v_mov_b32_e32 v35, 0xffc00000                              // 00000000326C: 7E4602FF FFC00000
	v_exp_f32_e32 v44, v44                                     // 000000003274: 7E58412C
	v_exp_f32_e32 v45, v45                                     // 000000003278: 7E5A412D
	v_exp_f32_e32 v46, v46                                     // 00000000327C: 7E5C412E
	v_exp_f32_e32 v47, v47                                     // 000000003280: 7E5E412F
	v_exp_f32_e32 v48, v48                                     // 000000003284: 7E604130
	v_exp_f32_e32 v49, v49                                     // 000000003288: 7E624131
	v_exp_f32_e32 v50, v50                                     // 00000000328C: 7E644132
	v_exp_f32_e32 v51, v51                                     // 000000003290: 7E664133
	v_exp_f32_e32 v52, v52                                     // 000000003294: 7E684134
	v_exp_f32_e32 v53, v53                                     // 000000003298: 7E6A4135
	v_exp_f32_e32 v54, v54                                     // 00000000329C: 7E6C4136
	v_exp_f32_e32 v55, v55                                     // 0000000032A0: 7E6E4137
	v_exp_f32_e32 v56, v56                                     // 0000000032A4: 7E704138
	v_exp_f32_e32 v57, v57                                     // 0000000032A8: 7E724139
	v_exp_f32_e32 v58, v58                                     // 0000000032AC: 7E74413A
	v_exp_f32_e32 v59, v59                                     // 0000000032B0: 7E76413B
	v_mul_f32_e32 v4, v21, v4                                  // 0000000032B4: 0A080915
	v_mov_b32_e32 v35, v44                                     // 0000000032B8: 7E46032C
	v_add_f32_e32 v35, v45, v35                                // 0000000032BC: 0246472D
	v_add_f32_e32 v35, v46, v35                                // 0000000032C0: 0246472E
	v_add_f32_e32 v35, v47, v35                                // 0000000032C4: 0246472F
	v_add_f32_e32 v35, v48, v35                                // 0000000032C8: 02464730
	v_add_f32_e32 v35, v49, v35                                // 0000000032CC: 02464731
	v_add_f32_e32 v35, v50, v35                                // 0000000032D0: 02464732
	v_add_f32_e32 v35, v51, v35                                // 0000000032D4: 02464733
	v_add_f32_e32 v35, v52, v35                                // 0000000032D8: 02464734
	v_add_f32_e32 v35, v53, v35                                // 0000000032DC: 02464735
	v_add_f32_e32 v35, v54, v35                                // 0000000032E0: 02464736
	v_add_f32_e32 v35, v55, v35                                // 0000000032E4: 02464737
	v_add_f32_e32 v35, v56, v35                                // 0000000032E8: 02464738
	v_add_f32_e32 v35, v57, v35                                // 0000000032EC: 02464739
	v_add_f32_e32 v35, v58, v35                                // 0000000032F0: 0246473A
	v_add_f32_e32 v35, v59, v35                                // 0000000032F4: 0246473B
	v_add_f32_e32 v4, v35, v4                                  // 0000000032F8: 02080923
	v_cvt_pk_fp8_f32 v44, v44, v45                             // 0000000032FC: D2A2002C 00025B2C
	v_cvt_pk_fp8_f32 v44, v46, v47 op_sel:[0,0,1]              // 000000003304: D2A2402C 00025F2E
	v_cvt_pk_fp8_f32 v45, v48, v49                             // 00000000330C: D2A2002D 00026330
	v_cvt_pk_fp8_f32 v45, v50, v51 op_sel:[0,0,1]              // 000000003314: D2A2402D 00026732
	v_cvt_pk_fp8_f32 v46, v52, v53                             // 00000000331C: D2A2002E 00026B34
	v_cvt_pk_fp8_f32 v46, v54, v55 op_sel:[0,0,1]              // 000000003324: D2A2402E 00026F36
	v_cvt_pk_fp8_f32 v47, v56, v57                             // 00000000332C: D2A2002F 00027338
	v_cvt_pk_fp8_f32 v47, v58, v59 op_sel:[0,0,1]              // 000000003334: D2A2402F 0002773A
	ds_write_b128 v43, v[44:47] offset:1024                    // 00000000333C: D9BE0400 00002C2B
	s_waitcnt lgkmcnt(0)                                       // 000000003344: BF8CC07F
	s_barrier                                                  // 000000003348: BF8A0000
	ds_read_b128 v[44:47], v42 offset:1024                     // 00000000334C: D9FE0400 2C00002A
	ds_read_b128 v[48:51], v42 offset:2048                     // 000000003354: D9FE0800 3000002A
	s_waitcnt lgkmcnt(0)                                       // 00000000335C: BF8CC07F
	v_permlane32_swap_b32_e32 v44, v46                         // 000000003360: 7E58B52E
	v_permlane32_swap_b32_e32 v45, v47                         // 000000003364: 7E5AB52F
	v_swap_b32 v45, v46                                        // 000000003368: 7E5AA32E
	v_permlane32_swap_b32_e32 v48, v50                         // 00000000336C: 7E60B532
	v_permlane32_swap_b32_e32 v49, v51                         // 000000003370: 7E62B533
	v_swap_b32 v49, v50                                        // 000000003374: 7E62A332
	s_addk_i32 s70, 0x1                                        // 000000003378: B7460001
	s_cmp_eq_u32 s71, s70                                      // 00000000337C: BF064647
	s_cbranch_scc1 label_4C54                                  // 000000003380: BF850EF4
	s_waitcnt lgkmcnt(4)                                       // 000000003384: BF8CC47F
	v_mfma_f32_32x32x64_f8f6f4 v[60:75], a[72:79], a[0:7], 0   // 000000003388: D3AE003C 1A020148
	v_mul_u32_u24_e64 v217, v33, s68                           // 000000003390: D10800D9 00008921
	v_add_u32_e32 v217, v217, v1                               // 000000003398: 69B203D9
	buffer_load_dword v31, v34, s[24:27], 0 offen              // 00000000339C: E0501000 80061F22
	ds_read_b64_tr_b8 a[72:73], v9                             // 0000000033A4: DBC40000 48000009
	ds_read_b64_tr_b8 a[74:75], v10                            // 0000000033AC: DBC40000 4A00000A
	ds_read_b64_tr_b8 a[76:77], v9 offset:18432                // 0000000033B4: DBC44800 4C000009
	ds_read_b64_tr_b8 a[78:79], v10 offset:18432               // 0000000033BC: DBC44800 4E00000A
	v_mfma_f32_32x32x64_f8f6f4 v[60:75], a[80:87], a[8:15], v[60:75]// 0000000033C4: D3AE003C 1CF21150
	s_mov_b32 s56, 0x2000                                      // 0000000033CC: BEB800FF 00002000
	s_mul_i32 s57, s7, 0x2400                                  // 0000000033D4: 9239FF07 00002400
	s_add_u32 m0, s56, s57                                     // 0000000033DC: 807C3938
	buffer_load_dwordx4 v217, s[20:23], 0 offen lds            // 0000000033E0: E05D1000 800500D9
	s_add_i32 m0, m0, 0x3c0                                    // 0000000033E8: 817CFF7C 000003C0
	ds_read_b64_tr_b8 a[80:81], v11                            // 0000000033F0: DBC40000 5000000B
	ds_read_b64_tr_b8 a[82:83], v12                            // 0000000033F8: DBC40000 5200000C
	ds_read_b64_tr_b8 a[84:85], v11 offset:18432               // 000000003400: DBC44800 5400000B
	ds_read_b64_tr_b8 a[86:87], v12 offset:18432               // 000000003408: DBC44800 5600000C
	v_mfma_f32_32x32x64_f8f6f4 v[60:75], a[88:95], a[16:23], v[60:75]// 000000003410: D3AE003C 1CF22158
	ds_read_b64_tr_b8 a[88:89], v9 offset:1024                 // 000000003418: DBC40400 58000009
	ds_read_b64_tr_b8 a[90:91], v10 offset:1024                // 000000003420: DBC40400 5A00000A
	ds_read_b64_tr_b8 a[92:93], v9 offset:19456                // 000000003428: DBC44C00 5C000009
	ds_read_b64_tr_b8 a[94:95], v10 offset:19456               // 000000003430: DBC44C00 5E00000A
	v_mfma_f32_32x32x64_f8f6f4 v[60:75], a[96:103], a[24:31], v[60:75]// 000000003438: D3AE003C 1CF23160
	buffer_load_dwordx4 v217, s[20:23], 0 offen offset:64 lds  // 000000003440: E05D1040 800500D9
	s_add_i32 m0, m0, 0x3c0                                    // 000000003448: 817CFF7C 000003C0
	ds_read_b64_tr_b8 a[96:97], v11 offset:1024                // 000000003450: DBC40400 6000000B
	ds_read_b64_tr_b8 a[98:99], v12 offset:1024                // 000000003458: DBC40400 6200000C
	ds_read_b64_tr_b8 a[100:101], v11 offset:19456             // 000000003460: DBC44C00 6400000B
	ds_read_b64_tr_b8 a[102:103], v12 offset:19456             // 000000003468: DBC44C00 6600000C
	v_mfma_f32_32x32x64_f8f6f4 v[60:75], a[104:111], a[32:39], v[60:75]// 000000003470: D3AE003C 1CF24168
	ds_read_b64_tr_b8 a[104:105], v9 offset:2048               // 000000003478: DBC40800 68000009
	ds_read_b64_tr_b8 a[106:107], v10 offset:2048              // 000000003480: DBC40800 6A00000A
	ds_read_b64_tr_b8 a[108:109], v9 offset:20480              // 000000003488: DBC45000 6C000009
	ds_read_b64_tr_b8 a[110:111], v10 offset:20480             // 000000003490: DBC45000 6E00000A
	v_mfma_f32_32x32x64_f8f6f4 v[60:75], a[112:119], a[40:47], v[60:75]// 000000003498: D3AE003C 1CF25170
	buffer_load_dwordx4 v217, s[20:23], 0 offen offset:128 lds // 0000000034A0: E05D1080 800500D9
	s_add_i32 m0, m0, 0x3c0                                    // 0000000034A8: 817CFF7C 000003C0
	ds_read_b64_tr_b8 a[112:113], v11 offset:2048              // 0000000034B0: DBC40800 7000000B
	ds_read_b64_tr_b8 a[114:115], v12 offset:2048              // 0000000034B8: DBC40800 7200000C
	ds_read_b64_tr_b8 a[116:117], v11 offset:20480             // 0000000034C0: DBC45000 7400000B
	ds_read_b64_tr_b8 a[118:119], v12 offset:20480             // 0000000034C8: DBC45000 7600000C
	v_mfma_f32_32x32x64_f8f6f4 v[60:75], a[120:127], a[48:55], v[60:75]// 0000000034D0: D3AE003C 1CF26178
	ds_read_b64_tr_b8 a[120:121], v9 offset:3072               // 0000000034D8: DBC40C00 78000009
	ds_read_b64_tr_b8 a[122:123], v10 offset:3072              // 0000000034E0: DBC40C00 7A00000A
	ds_read_b64_tr_b8 a[124:125], v9 offset:21504              // 0000000034E8: DBC45400 7C000009
	ds_read_b64_tr_b8 a[126:127], v10 offset:21504             // 0000000034F0: DBC45400 7E00000A
	v_mfma_f32_32x32x64_f8f6f4 v[60:75], a[128:135], a[56:63], v[60:75]// 0000000034F8: D3AE003C 1CF27180
	buffer_load_dwordx4 v217, s[20:23], 0 offen offset:192 lds // 000000003500: E05D10C0 800500D9
	s_add_i32 m0, m0, 0x3c0                                    // 000000003508: 817CFF7C 000003C0
	ds_read_b64_tr_b8 a[128:129], v11 offset:3072              // 000000003510: DBC40C00 8000000B
	ds_read_b64_tr_b8 a[130:131], v12 offset:3072              // 000000003518: DBC40C00 8200000C
	ds_read_b64_tr_b8 a[132:133], v11 offset:21504             // 000000003520: DBC45400 8400000B
	ds_read_b64_tr_b8 a[134:135], v12 offset:21504             // 000000003528: DBC45400 8600000C
	v_mfma_f32_32x32x64_f8f6f4 v[60:75], a[136:143], a[64:71], v[60:75]// 000000003530: D3AE003C 1CF28188
	buffer_load_dwordx4 v217, s[20:23], 0 offen offset:256 lds // 000000003538: E05D1100 800500D9
	s_add_i32 m0, m0, 0x3c0                                    // 000000003540: 817CFF7C 000003C0
	buffer_load_dwordx4 v217, s[20:23], 0 offen offset:320 lds // 000000003548: E05D1140 800500D9
	s_add_i32 m0, m0, 0x3c0                                    // 000000003550: 817CFF7C 000003C0
	buffer_load_dwordx4 v217, s[20:23], 0 offen offset:384 lds // 000000003558: E05D1180 800500D9
	s_add_i32 m0, m0, 0x3c0                                    // 000000003560: 817CFF7C 000003C0
	buffer_load_dwordx4 v217, s[20:23], 0 offen offset:448 lds // 000000003568: E05D11C0 800500D9
	s_add_i32 m0, m0, 0x3c0                                    // 000000003570: 817CFF7C 000003C0
	buffer_load_dwordx4 v217, s[20:23], 0 offen offset:512 lds // 000000003578: E05D1200 800500D9
	s_add_i32 m0, m0, 0x3c0                                    // 000000003580: 817CFF7C 000003C0
	v_add_u32_e32 v34, s73, v34                                // 000000003588: 68444449
	s_addk_i32 s70, 0x1                                        // 00000000358C: B7460001
	s_cmp_eq_u32 s71, s70                                      // 000000003590: BF064647
	s_cbranch_scc1 label_4E2C                                  // 000000003594: BF850EE5
	s_cmp_lt_i32 s7, 2                                         // 000000003598: BF048207
	s_cbranch_scc0 label_2F80                                  // 00000000359C: BF840738

00000000000035a0 <label_12A0>:
	v_mul_u32_u24_e64 v217, v30, s68                           // 0000000035A0: D10800D9 0000891E
	v_add_u32_e32 v217, v217, v1                               // 0000000035A8: 69B203D9
	s_waitcnt vmcnt(10)                                        // 0000000035AC: BF8C0F7A
	s_barrier                                                  // 0000000035B0: BF8A0000
	s_waitcnt lgkmcnt(8)                                       // 0000000035B4: BF8CC87F
	v_mfma_f32_32x32x64_f8f6f4 v[76:91], a[72:79], v[44:51], v[76:91]// 0000000035B8: D3AE004C 0D325948
	ds_read_b128 a[72:75], v28                                 // 0000000035C0: DBFE0000 4800001C
	ds_read_b128 a[76:79], v29                                 // 0000000035C8: DBFE0000 4C00001D
	v_mov_b32_e32 v213, v60                                    // 0000000035D0: 7FAA033C
	v_max3_f32 v213, v60, v61, v213                            // 0000000035D4: D1D300D5 07567B3C
	v_max3_f32 v213, v62, v63, v213                            // 0000000035DC: D1D300D5 07567F3E
	v_max3_f32 v213, v64, v65, v213                            // 0000000035E4: D1D300D5 07568340
	v_max3_f32 v213, v66, v67, v213                            // 0000000035EC: D1D300D5 07568742
	v_max3_f32 v213, v68, v69, v213                            // 0000000035F4: D1D300D5 07568B44
	v_max3_f32 v213, v70, v71, v213                            // 0000000035FC: D1D300D5 07568F46
	v_max3_f32 v213, v72, v73, v213                            // 000000003604: D1D300D5 07569348
	v_max3_f32 v213, v74, v75, v213                            // 00000000360C: D1D300D5 0756974A
	v_mov_b32_e32 v35, v213                                    // 000000003614: 7E4603D5
	v_mov_b32_e32 v36, v213                                    // 000000003618: 7E4803D5
	s_nop 0                                                    // 00000000361C: BF800000
	v_mfma_f32_32x32x64_f8f6f4 v[92:107], a[80:87], v[44:51], v[92:107]// 000000003620: D3AE005C 0D725950
	v_permlane32_swap_b32_e32 v35, v36                         // 000000003628: 7E46B524
	v_max3_f32 v213, v35, v36, v213                            // 00000000362C: D1D300D5 07564923
	ds_write_b32 v41, v213                                     // 000000003634: D81A0000 0000D529
	s_mov_b32 s56, 0xb000                                      // 00000000363C: BEB800FF 0000B000
	s_mul_i32 s57, s7, 0x2400                                  // 000000003644: 9239FF07 00002400
	s_add_u32 m0, s56, s57                                     // 00000000364C: 807C3938
	buffer_load_dwordx4 v217, s[20:23], 0 offen lds            // 000000003650: E05D1000 800500D9
	s_add_i32 m0, m0, 0x3c0                                    // 000000003658: 817CFF7C 000003C0
	buffer_load_dwordx4 v217, s[20:23], 0 offen offset:64 lds  // 000000003660: E05D1040 800500D9
	s_add_i32 m0, m0, 0x3c0                                    // 000000003668: 817CFF7C 000003C0
	s_waitcnt lgkmcnt(0)                                       // 000000003670: BF8CC07F
	s_barrier                                                  // 000000003674: BF8A0000
	v_mfma_f32_32x32x64_f8f6f4 v[108:123], a[88:95], v[44:51], v[108:123]// 000000003678: D3AE006C 0DB25958
	ds_read_b32 v35, v40                                       // 000000003680: D86C0000 23000028
	ds_read_b32 v36, v40 offset:256                            // 000000003688: D86C0100 24000028
	s_waitcnt lgkmcnt(0)                                       // 000000003690: BF8CC07F
	v_max3_f32 v213, v35, v36, v213                            // 000000003694: D1D300D5 07564923
	v_mov_b32_e32 v35, 0xff800000                              // 00000000369C: 7E4602FF FF800000
	v_cmp_eq_u32_e64 s[36:37], v35, v2                         // 0000000036A4: D0CA0024 00020523
	v_max_f32_e32 v216, v213, v2                               // 0000000036AC: 17B005D5
	v_sub_f32_e32 v21, v2, v216                                // 0000000036B0: 042BB102
	v_cndmask_b32_e64 v21, v21, 0, s[36:37]                    // 0000000036B4: D1000015 00910115
	v_mfma_f32_32x32x64_f8f6f4 v[124:139], a[96:103], v[44:51], v[124:139]// 0000000036BC: D3AE007C 0DF25960
	buffer_load_dwordx4 v217, s[20:23], 0 offen offset:128 lds // 0000000036C4: E05D1080 800500D9
	s_add_i32 m0, m0, 0x3c0                                    // 0000000036CC: 817CFF7C 000003C0
	v_mov_b32_e32 v2, v216                                     // 0000000036D4: 7E0403D8
	v_mul_f32_e32 v212, s5, v216                               // 0000000036D8: 0BA9B005
	v_mul_f32_e32 v21, s5, v21                                 // 0000000036DC: 0A2A2A05
	v_exp_f32_e32 v21, v21                                     // 0000000036E0: 7E2A4115
	v_fma_f32 v60, v60, s5, -v212                              // 0000000036E4: D1CB003C 87500B3C
	v_fma_f32 v61, v61, s5, -v212                              // 0000000036EC: D1CB003D 87500B3D
	v_fma_f32 v62, v62, s5, -v212                              // 0000000036F4: D1CB003E 87500B3E
	v_fma_f32 v63, v63, s5, -v212                              // 0000000036FC: D1CB003F 87500B3F
	v_fma_f32 v64, v64, s5, -v212                              // 000000003704: D1CB0040 87500B40
	v_fma_f32 v65, v65, s5, -v212                              // 00000000370C: D1CB0041 87500B41
	v_fma_f32 v66, v66, s5, -v212                              // 000000003714: D1CB0042 87500B42
	v_fma_f32 v67, v67, s5, -v212                              // 00000000371C: D1CB0043 87500B43
	v_fma_f32 v68, v68, s5, -v212                              // 000000003724: D1CB0044 87500B44
	v_mfma_f32_32x32x64_f8f6f4 v[140:155], a[104:111], v[44:51], v[140:155]// 00000000372C: D3AE008C 0E325968
	ds_read_b128 a[80:83], v28 offset:1024                     // 000000003734: DBFE0400 5000001C
	ds_read_b128 a[84:87], v29 offset:1024                     // 00000000373C: DBFE0400 5400001D
	ds_read_b128 a[88:91], v28 offset:2048                     // 000000003744: DBFE0800 5800001C
	ds_read_b128 a[92:95], v29 offset:2048                     // 00000000374C: DBFE0800 5C00001D
	ds_read_b128 a[96:99], v28 offset:3072                     // 000000003754: DBFE0C00 6000001C
	ds_read_b128 a[100:103], v29 offset:3072                   // 00000000375C: DBFE0C00 6400001D
	v_fma_f32 v69, v69, s5, -v212                              // 000000003764: D1CB0045 87500B45
	v_fma_f32 v70, v70, s5, -v212                              // 00000000376C: D1CB0046 87500B46
	v_fma_f32 v71, v71, s5, -v212                              // 000000003774: D1CB0047 87500B47
	v_fma_f32 v72, v72, s5, -v212                              // 00000000377C: D1CB0048 87500B48
	v_fma_f32 v73, v73, s5, -v212                              // 000000003784: D1CB0049 87500B49
	v_fma_f32 v74, v74, s5, -v212                              // 00000000378C: D1CB004A 87500B4A
	v_fma_f32 v75, v75, s5, -v212                              // 000000003794: D1CB004B 87500B4B
	v_exp_f32_e32 v60, v60                                     // 00000000379C: 7E78413C
	v_exp_f32_e32 v61, v61                                     // 0000000037A0: 7E7A413D
	v_mfma_f32_32x32x64_f8f6f4 v[156:171], a[112:119], v[44:51], v[156:171]// 0000000037A4: D3AE009C 0E725970
	buffer_load_dwordx4 v217, s[20:23], 0 offen offset:192 lds // 0000000037AC: E05D10C0 800500D9
	s_add_i32 m0, m0, 0x3c0                                    // 0000000037B4: 817CFF7C 000003C0
	v_exp_f32_e32 v62, v62                                     // 0000000037BC: 7E7C413E
	v_exp_f32_e32 v63, v63                                     // 0000000037C0: 7E7E413F
	v_exp_f32_e32 v64, v64                                     // 0000000037C4: 7E804140
	v_exp_f32_e32 v65, v65                                     // 0000000037C8: 7E824141
	v_exp_f32_e32 v66, v66                                     // 0000000037CC: 7E844142
	v_exp_f32_e32 v67, v67                                     // 0000000037D0: 7E864143
	v_exp_f32_e32 v68, v68                                     // 0000000037D4: 7E884144
	v_mfma_f32_32x32x64_f8f6f4 v[172:187], a[120:127], v[44:51], v[172:187]// 0000000037D8: D3AE00AC 0EB25978
	ds_read_b128 a[104:107], v28 offset:4096                   // 0000000037E0: DBFE1000 6800001C
	ds_read_b128 a[108:111], v29 offset:4096                   // 0000000037E8: DBFE1000 6C00001D
	ds_read_b128 a[112:115], v28 offset:5120                   // 0000000037F0: DBFE1400 7000001C
	ds_read_b128 a[116:119], v29 offset:5120                   // 0000000037F8: DBFE1400 7400001D
	ds_read_b128 a[120:123], v28 offset:6144                   // 000000003800: DBFE1800 7800001C
	ds_read_b128 a[124:127], v29 offset:6144                   // 000000003808: DBFE1800 7C00001D
	v_exp_f32_e32 v69, v69                                     // 000000003810: 7E8A4145
	v_exp_f32_e32 v70, v70                                     // 000000003814: 7E8C4146
	v_exp_f32_e32 v71, v71                                     // 000000003818: 7E8E4147
	v_exp_f32_e32 v72, v72                                     // 00000000381C: 7E904148
	v_exp_f32_e32 v73, v73                                     // 000000003820: 7E924149
	v_mfma_f32_32x32x64_f8f6f4 v[188:203], a[128:135], v[44:51], v[188:203]// 000000003824: D3AE00BC 0EF25980
	ds_read_b128 a[128:131], v28 offset:7168                   // 00000000382C: DBFE1C00 8000001C
	ds_read_b128 a[132:135], v29 offset:7168                   // 000000003834: DBFE1C00 8400001D
	ds_read_b128 a[136:139], v28 offset:8192                   // 00000000383C: DBFE2000 8800001C
	ds_read_b128 a[140:143], v29 offset:8192                   // 000000003844: DBFE2000 8C00001D
	v_exp_f32_e32 v74, v74                                     // 00000000384C: 7E94414A
	v_exp_f32_e32 v75, v75                                     // 000000003850: 7E96414B
	v_mul_f32_e32 v4, v21, v4                                  // 000000003854: 0A080915
	v_mov_b32_e32 v35, v60                                     // 000000003858: 7E46033C
	v_add_f32_e32 v35, v61, v35                                // 00000000385C: 0246473D
	v_add_f32_e32 v35, v62, v35                                // 000000003860: 0246473E
	v_add_f32_e32 v35, v63, v35                                // 000000003864: 0246473F
	v_add_f32_e32 v35, v64, v35                                // 000000003868: 02464740
	v_add_f32_e32 v35, v65, v35                                // 00000000386C: 02464741
	v_add_f32_e32 v35, v66, v35                                // 000000003870: 02464742
	v_add_f32_e32 v35, v67, v35                                // 000000003874: 02464743
	;; [unrolled: 1-line block ×3, first 2 shown]
	v_add_f32_e32 v35, v69, v35                                // 00000000387C: 02464745
	v_add_f32_e32 v35, v70, v35                                // 000000003880: 02464746
	v_add_f32_e32 v35, v71, v35                                // 000000003884: 02464747
	;; [unrolled: 1-line block ×3, first 2 shown]
	v_add_f32_e32 v35, v73, v35                                // 00000000388C: 02464749
	v_add_f32_e32 v35, v74, v35                                // 000000003890: 0246474A
	v_add_f32_e32 v35, v75, v35                                // 000000003894: 0246474B
	v_add_f32_e32 v4, v35, v4                                  // 000000003898: 02080923
	v_cvt_pk_fp8_f32 v60, v60, v61                             // 00000000389C: D2A2003C 00027B3C
	v_cvt_pk_fp8_f32 v60, v62, v63 op_sel:[0,0,1]              // 0000000038A4: D2A2403C 00027F3E
	v_cvt_pk_fp8_f32 v61, v64, v65                             // 0000000038AC: D2A2003D 00028340
	v_cvt_pk_fp8_f32 v61, v66, v67 op_sel:[0,0,1]              // 0000000038B4: D2A2403D 00028742
	v_cvt_pk_fp8_f32 v62, v68, v69                             // 0000000038BC: D2A2003E 00028B44
	v_cvt_pk_fp8_f32 v62, v70, v71 op_sel:[0,0,1]              // 0000000038C4: D2A2403E 00028F46
	v_cvt_pk_fp8_f32 v63, v72, v73                             // 0000000038CC: D2A2003F 00029348
	v_cvt_pk_fp8_f32 v63, v74, v75 op_sel:[0,0,1]              // 0000000038D4: D2A2403F 0002974A
	s_waitcnt lgkmcnt(8)                                       // 0000000038DC: BF8CC87F
	v_mfma_f32_32x32x64_f8f6f4 v[44:59], a[72:79], a[0:7], 0   // 0000000038E0: D3AE002C 1A020148
	ds_write_b128 v43, v[60:63] offset:1024                    // 0000000038E8: D9BE0400 00003C2B
	buffer_load_dword v32, v34, s[24:27], 0 offen              // 0000000038F0: E0501000 80062022
	buffer_load_dwordx4 v217, s[20:23], 0 offen offset:256 lds // 0000000038F8: E05D1100 800500D9
	s_add_i32 m0, m0, 0x3c0                                    // 000000003900: 817CFF7C 000003C0
	v_mul_f32_e32 v76, v21, v76                                // 000000003908: 0A989915
	v_mul_f32_e32 v77, v21, v77                                // 00000000390C: 0A9A9B15
	v_mul_f32_e32 v78, v21, v78                                // 000000003910: 0A9C9D15
	v_mul_f32_e32 v79, v21, v79                                // 000000003914: 0A9E9F15
	v_mul_f32_e32 v80, v21, v80                                // 000000003918: 0AA0A115
	v_mul_f32_e32 v81, v21, v81                                // 00000000391C: 0AA2A315
	v_mul_f32_e32 v82, v21, v82                                // 000000003920: 0AA4A515
	v_mul_f32_e32 v83, v21, v83                                // 000000003924: 0AA6A715
	v_mul_f32_e32 v84, v21, v84                                // 000000003928: 0AA8A915
	v_mfma_f32_32x32x64_f8f6f4 v[44:59], a[80:87], a[8:15], v[44:59]// 00000000392C: D3AE002C 1CB21150
	ds_read_b64_tr_b8 a[72:73], v13                            // 000000003934: DBC40000 4800000D
	ds_read_b64_tr_b8 a[74:75], v14                            // 00000000393C: DBC40000 4A00000E
	ds_read_b64_tr_b8 a[76:77], v13 offset:18432               // 000000003944: DBC44800 4C00000D
	ds_read_b64_tr_b8 a[78:79], v14 offset:18432               // 00000000394C: DBC44800 4E00000E
	ds_read_b64_tr_b8 a[80:81], v15                            // 000000003954: DBC40000 5000000F
	ds_read_b64_tr_b8 a[82:83], v16                            // 00000000395C: DBC40000 52000010
	ds_read_b64_tr_b8 a[84:85], v15 offset:18432               // 000000003964: DBC44800 5400000F
	ds_read_b64_tr_b8 a[86:87], v16 offset:18432               // 00000000396C: DBC44800 56000010
	v_mul_f32_e32 v85, v21, v85                                // 000000003974: 0AAAAB15
	v_mul_f32_e32 v86, v21, v86                                // 000000003978: 0AACAD15
	v_mul_f32_e32 v87, v21, v87                                // 00000000397C: 0AAEAF15
	v_mul_f32_e32 v88, v21, v88                                // 000000003980: 0AB0B115
	v_mul_f32_e32 v89, v21, v89                                // 000000003984: 0AB2B315
	v_mul_f32_e32 v90, v21, v90                                // 000000003988: 0AB4B515
	v_mul_f32_e32 v91, v21, v91                                // 00000000398C: 0AB6B715
	v_mul_f32_e32 v92, v21, v92                                // 000000003990: 0AB8B915
	v_mul_f32_e32 v93, v21, v93                                // 000000003994: 0ABABB15
	v_mul_f32_e32 v94, v21, v94                                // 000000003998: 0ABCBD15
	v_mul_f32_e32 v95, v21, v95                                // 00000000399C: 0ABEBF15
	v_mul_f32_e32 v96, v21, v96                                // 0000000039A0: 0AC0C115
	s_waitcnt lgkmcnt(0)                                       // 0000000039A4: BF8CC07F
	s_barrier                                                  // 0000000039A8: BF8A0000
	v_mfma_f32_32x32x64_f8f6f4 v[44:59], a[88:95], a[16:23], v[44:59]// 0000000039AC: D3AE002C 1CB22158
	ds_read_b128 v[60:63], v42 offset:1024                     // 0000000039B4: D9FE0400 3C00002A
	ds_read_b128 v[64:67], v42 offset:2048                     // 0000000039BC: D9FE0800 4000002A
	buffer_load_dwordx4 v217, s[20:23], 0 offen offset:320 lds // 0000000039C4: E05D1140 800500D9
	s_add_i32 m0, m0, 0x3c0                                    // 0000000039CC: 817CFF7C 000003C0
	v_mul_f32_e32 v97, v21, v97                                // 0000000039D4: 0AC2C315
	v_mul_f32_e32 v98, v21, v98                                // 0000000039D8: 0AC4C515
	v_mul_f32_e32 v99, v21, v99                                // 0000000039DC: 0AC6C715
	v_mul_f32_e32 v100, v21, v100                              // 0000000039E0: 0AC8C915
	v_mul_f32_e32 v101, v21, v101                              // 0000000039E4: 0ACACB15
	v_mul_f32_e32 v102, v21, v102                              // 0000000039E8: 0ACCCD15
	v_mul_f32_e32 v103, v21, v103                              // 0000000039EC: 0ACECF15
	v_mul_f32_e32 v104, v21, v104                              // 0000000039F0: 0AD0D115
	v_mul_f32_e32 v105, v21, v105                              // 0000000039F4: 0AD2D315
	v_mul_f32_e32 v106, v21, v106                              // 0000000039F8: 0AD4D515
	v_mul_f32_e32 v107, v21, v107                              // 0000000039FC: 0AD6D715
	v_mul_f32_e32 v108, v21, v108                              // 000000003A00: 0AD8D915
	v_add_u32_e32 v34, s73, v34                                // 000000003A04: 68444449
	v_mfma_f32_32x32x64_f8f6f4 v[44:59], a[96:103], a[24:31], v[44:59]// 000000003A08: D3AE002C 1CB23160
	ds_read_b64_tr_b8 a[88:89], v13 offset:1024                // 000000003A10: DBC40400 5800000D
	ds_read_b64_tr_b8 a[90:91], v14 offset:1024                // 000000003A18: DBC40400 5A00000E
	ds_read_b64_tr_b8 a[92:93], v13 offset:19456               // 000000003A20: DBC44C00 5C00000D
	ds_read_b64_tr_b8 a[94:95], v14 offset:19456               // 000000003A28: DBC44C00 5E00000E
	ds_read_b64_tr_b8 a[96:97], v15 offset:1024                // 000000003A30: DBC40400 6000000F
	ds_read_b64_tr_b8 a[98:99], v16 offset:1024                // 000000003A38: DBC40400 62000010
	ds_read_b64_tr_b8 a[100:101], v15 offset:19456             // 000000003A40: DBC44C00 6400000F
	ds_read_b64_tr_b8 a[102:103], v16 offset:19456             // 000000003A48: DBC44C00 66000010
	v_mul_f32_e32 v109, v21, v109                              // 000000003A50: 0ADADB15
	v_mul_f32_e32 v110, v21, v110                              // 000000003A54: 0ADCDD15
	v_mul_f32_e32 v111, v21, v111                              // 000000003A58: 0ADEDF15
	v_mul_f32_e32 v112, v21, v112                              // 000000003A5C: 0AE0E115
	v_mul_f32_e32 v113, v21, v113                              // 000000003A60: 0AE2E315
	v_mul_f32_e32 v114, v21, v114                              // 000000003A64: 0AE4E515
	v_mul_f32_e32 v115, v21, v115                              // 000000003A68: 0AE6E715
	v_mul_f32_e32 v116, v21, v116                              // 000000003A6C: 0AE8E915
	v_mul_f32_e32 v117, v21, v117                              // 000000003A70: 0AEAEB15
	v_mul_f32_e32 v118, v21, v118                              // 000000003A74: 0AECED15
	v_mul_f32_e32 v119, v21, v119                              // 000000003A78: 0AEEEF15
	v_mul_f32_e32 v120, v21, v120                              // 000000003A7C: 0AF0F115
	v_mfma_f32_32x32x64_f8f6f4 v[44:59], a[104:111], a[32:39], v[44:59]// 000000003A80: D3AE002C 1CB24168
	buffer_load_dwordx4 v217, s[20:23], 0 offen offset:384 lds // 000000003A88: E05D1180 800500D9
	s_add_i32 m0, m0, 0x3c0                                    // 000000003A90: 817CFF7C 000003C0
	v_mul_f32_e32 v121, v21, v121                              // 000000003A98: 0AF2F315
	v_mul_f32_e32 v122, v21, v122                              // 000000003A9C: 0AF4F515
	v_mul_f32_e32 v123, v21, v123                              // 000000003AA0: 0AF6F715
	v_mul_f32_e32 v124, v21, v124                              // 000000003AA4: 0AF8F915
	v_mul_f32_e32 v125, v21, v125                              // 000000003AA8: 0AFAFB15
	v_mul_f32_e32 v126, v21, v126                              // 000000003AAC: 0AFCFD15
	v_mul_f32_e32 v127, v21, v127                              // 000000003AB0: 0AFEFF15
	v_mul_f32_e32 v128, v21, v128                              // 000000003AB4: 0B010115
	v_mul_f32_e32 v129, v21, v129                              // 000000003AB8: 0B030315
	v_mul_f32_e32 v130, v21, v130                              // 000000003ABC: 0B050515
	v_mul_f32_e32 v131, v21, v131                              // 000000003AC0: 0B070715
	v_mul_f32_e32 v132, v21, v132                              // 000000003AC4: 0B090915
	v_mfma_f32_32x32x64_f8f6f4 v[44:59], a[112:119], a[40:47], v[44:59]// 000000003AC8: D3AE002C 1CB25170
	s_waitcnt lgkmcnt(0)                                       // 000000003AD0: BF8CC07F
	ds_read_b64_tr_b8 a[104:105], v13 offset:2048              // 000000003AD4: DBC40800 6800000D
	ds_read_b64_tr_b8 a[106:107], v14 offset:2048              // 000000003ADC: DBC40800 6A00000E
	ds_read_b64_tr_b8 a[108:109], v13 offset:20480             // 000000003AE4: DBC45000 6C00000D
	ds_read_b64_tr_b8 a[110:111], v14 offset:20480             // 000000003AEC: DBC45000 6E00000E
	ds_read_b64_tr_b8 a[112:113], v15 offset:2048              // 000000003AF4: DBC40800 7000000F
	ds_read_b64_tr_b8 a[114:115], v16 offset:2048              // 000000003AFC: DBC40800 72000010
	ds_read_b64_tr_b8 a[116:117], v15 offset:20480             // 000000003B04: DBC45000 7400000F
	ds_read_b64_tr_b8 a[118:119], v16 offset:20480             // 000000003B0C: DBC45000 76000010
	v_mul_f32_e32 v133, v21, v133                              // 000000003B14: 0B0B0B15
	v_mul_f32_e32 v134, v21, v134                              // 000000003B18: 0B0D0D15
	v_mul_f32_e32 v135, v21, v135                              // 000000003B1C: 0B0F0F15
	v_mul_f32_e32 v136, v21, v136                              // 000000003B20: 0B111115
	v_mul_f32_e32 v137, v21, v137                              // 000000003B24: 0B131315
	v_mul_f32_e32 v138, v21, v138                              // 000000003B28: 0B151515
	v_mul_f32_e32 v139, v21, v139                              // 000000003B2C: 0B171715
	v_mfma_f32_32x32x64_f8f6f4 v[44:59], a[120:127], a[48:55], v[44:59]// 000000003B30: D3AE002C 1CB26178
	buffer_load_dwordx4 v217, s[20:23], 0 offen offset:448 lds // 000000003B38: E05D11C0 800500D9
	s_add_i32 m0, m0, 0x3c0                                    // 000000003B40: 817CFF7C 000003C0
	v_permlane32_swap_b32_e32 v60, v62                         // 000000003B48: 7E78B53E
	v_permlane32_swap_b32_e32 v61, v63                         // 000000003B4C: 7E7AB53F
	v_swap_b32 v61, v62                                        // 000000003B50: 7E7AA33E
	v_permlane32_swap_b32_e32 v64, v66                         // 000000003B54: 7E80B542
	v_permlane32_swap_b32_e32 v65, v67                         // 000000003B58: 7E82B543
	v_swap_b32 v65, v66                                        // 000000003B5C: 7E82A342
	v_mfma_f32_32x32x64_f8f6f4 v[44:59], a[128:135], a[56:63], v[44:59]// 000000003B60: D3AE002C 1CB27180
	ds_read_b64_tr_b8 a[120:121], v13 offset:3072              // 000000003B68: DBC40C00 7800000D
	ds_read_b64_tr_b8 a[122:123], v14 offset:3072              // 000000003B70: DBC40C00 7A00000E
	ds_read_b64_tr_b8 a[124:125], v13 offset:21504             // 000000003B78: DBC45400 7C00000D
	ds_read_b64_tr_b8 a[126:127], v14 offset:21504             // 000000003B80: DBC45400 7E00000E
	ds_read_b64_tr_b8 a[128:129], v15 offset:3072              // 000000003B88: DBC40C00 8000000F
	ds_read_b64_tr_b8 a[130:131], v16 offset:3072              // 000000003B90: DBC40C00 82000010
	ds_read_b64_tr_b8 a[132:133], v15 offset:21504             // 000000003B98: DBC45400 8400000F
	ds_read_b64_tr_b8 a[134:135], v16 offset:21504             // 000000003BA0: DBC45400 86000010
	v_mov_b32_e32 v36, v21                                     // 000000003BA8: 7E480315
	v_mov_b32_e32 v37, v21                                     // 000000003BAC: 7E4A0315
	v_pk_mul_f32 v[140:141], v[36:37], v[140:141]              // 000000003BB0: D3B1408C 18031924
	v_pk_mul_f32 v[142:143], v[36:37], v[142:143]              // 000000003BB8: D3B1408E 18031D24
	v_pk_mul_f32 v[144:145], v[36:37], v[144:145]              // 000000003BC0: D3B14090 18032124
	v_pk_mul_f32 v[146:147], v[36:37], v[146:147]              // 000000003BC8: D3B14092 18032524
	v_pk_mul_f32 v[148:149], v[36:37], v[148:149]              // 000000003BD0: D3B14094 18032924
	v_pk_mul_f32 v[150:151], v[36:37], v[150:151]              // 000000003BD8: D3B14096 18032D24
	v_pk_mul_f32 v[152:153], v[36:37], v[152:153]              // 000000003BE0: D3B14098 18033124
	v_pk_mul_f32 v[154:155], v[36:37], v[154:155]              // 000000003BE8: D3B1409A 18033524
	v_pk_mul_f32 v[156:157], v[36:37], v[156:157]              // 000000003BF0: D3B1409C 18033924
	v_pk_mul_f32 v[158:159], v[36:37], v[158:159]              // 000000003BF8: D3B1409E 18033D24
	v_pk_mul_f32 v[160:161], v[36:37], v[160:161]              // 000000003C00: D3B140A0 18034124
	v_pk_mul_f32 v[162:163], v[36:37], v[162:163]              // 000000003C08: D3B140A2 18034524
	v_pk_mul_f32 v[164:165], v[36:37], v[164:165]              // 000000003C10: D3B140A4 18034924
	v_pk_mul_f32 v[166:167], v[36:37], v[166:167]              // 000000003C18: D3B140A6 18034D24
	v_pk_mul_f32 v[168:169], v[36:37], v[168:169]              // 000000003C20: D3B140A8 18035124
	v_pk_mul_f32 v[170:171], v[36:37], v[170:171]              // 000000003C28: D3B140AA 18035524
	v_pk_mul_f32 v[172:173], v[36:37], v[172:173]              // 000000003C30: D3B140AC 18035924
	v_pk_mul_f32 v[174:175], v[36:37], v[174:175]              // 000000003C38: D3B140AE 18035D24
	v_pk_mul_f32 v[176:177], v[36:37], v[176:177]              // 000000003C40: D3B140B0 18036124
	v_pk_mul_f32 v[178:179], v[36:37], v[178:179]              // 000000003C48: D3B140B2 18036524
	v_pk_mul_f32 v[180:181], v[36:37], v[180:181]              // 000000003C50: D3B140B4 18036924
	v_pk_mul_f32 v[182:183], v[36:37], v[182:183]              // 000000003C58: D3B140B6 18036D24
	v_pk_mul_f32 v[184:185], v[36:37], v[184:185]              // 000000003C60: D3B140B8 18037124
	v_pk_mul_f32 v[186:187], v[36:37], v[186:187]              // 000000003C68: D3B140BA 18037524
	v_pk_mul_f32 v[188:189], v[36:37], v[188:189]              // 000000003C70: D3B140BC 18037924
	v_pk_mul_f32 v[190:191], v[36:37], v[190:191]              // 000000003C78: D3B140BE 18037D24
	v_pk_mul_f32 v[192:193], v[36:37], v[192:193]              // 000000003C80: D3B140C0 18038124
	v_pk_mul_f32 v[194:195], v[36:37], v[194:195]              // 000000003C88: D3B140C2 18038524
	v_pk_mul_f32 v[196:197], v[36:37], v[196:197]              // 000000003C90: D3B140C4 18038924
	v_pk_mul_f32 v[198:199], v[36:37], v[198:199]              // 000000003C98: D3B140C6 18038D24
	v_pk_mul_f32 v[200:201], v[36:37], v[200:201]              // 000000003CA0: D3B140C8 18039124
	v_pk_mul_f32 v[202:203], v[36:37], v[202:203]              // 000000003CA8: D3B140CA 18039524
	v_mfma_f32_32x32x64_f8f6f4 v[44:59], a[136:143], a[64:71], v[44:59]// 000000003CB0: D3AE002C 1CB28188
	buffer_load_dwordx4 v217, s[20:23], 0 offen offset:512 lds // 000000003CB8: E05D1200 800500D9
	s_add_i32 m0, m0, 0x3c0                                    // 000000003CC0: 817CFF7C 000003C0
	s_addk_i32 s70, 0x1                                        // 000000003CC8: B7460001
	s_cmp_lt_i32 s70, s71                                      // 000000003CCC: BF044746
	s_cbranch_scc0 label_2F74                                  // 000000003CD0: BF840568
	v_mul_u32_u24_e64 v217, v31, s68                           // 000000003CD4: D10800D9 0000891F
	v_add_u32_e32 v217, v217, v1                               // 000000003CDC: 69B203D9
	s_waitcnt vmcnt(10)                                        // 000000003CE0: BF8C0F7A
	s_barrier                                                  // 000000003CE4: BF8A0000
	s_waitcnt lgkmcnt(8)                                       // 000000003CE8: BF8CC87F
	v_mfma_f32_32x32x64_f8f6f4 v[76:91], a[72:79], v[60:67], v[76:91]// 000000003CEC: D3AE004C 0D327948
	ds_read_b128 a[72:75], v22                                 // 000000003CF4: DBFE0000 48000016
	ds_read_b128 a[76:79], v23                                 // 000000003CFC: DBFE0000 4C000017
	v_mov_b32_e32 v213, v44                                    // 000000003D04: 7FAA032C
	v_max3_f32 v213, v44, v45, v213                            // 000000003D08: D1D300D5 07565B2C
	v_max3_f32 v213, v46, v47, v213                            // 000000003D10: D1D300D5 07565F2E
	v_max3_f32 v213, v48, v49, v213                            // 000000003D18: D1D300D5 07566330
	v_max3_f32 v213, v50, v51, v213                            // 000000003D20: D1D300D5 07566732
	v_max3_f32 v213, v52, v53, v213                            // 000000003D28: D1D300D5 07566B34
	v_max3_f32 v213, v54, v55, v213                            // 000000003D30: D1D300D5 07566F36
	v_max3_f32 v213, v56, v57, v213                            // 000000003D38: D1D300D5 07567338
	v_max3_f32 v213, v58, v59, v213                            // 000000003D40: D1D300D5 0756773A
	v_mov_b32_e32 v35, v213                                    // 000000003D48: 7E4603D5
	v_mov_b32_e32 v36, v213                                    // 000000003D4C: 7E4803D5
	s_nop 0                                                    // 000000003D50: BF800000
	v_mfma_f32_32x32x64_f8f6f4 v[92:107], a[80:87], v[60:67], v[92:107]// 000000003D54: D3AE005C 0D727950
	v_permlane32_swap_b32_e32 v35, v36                         // 000000003D5C: 7E46B524
	v_max3_f32 v213, v35, v36, v213                            // 000000003D60: D1D300D5 07564923
	ds_write_b32 v41, v213                                     // 000000003D68: D81A0000 0000D529
	s_mov_b32 s56, 0x14000                                     // 000000003D70: BEB800FF 00014000
	s_mul_i32 s57, s7, 0x2400                                  // 000000003D78: 9239FF07 00002400
	s_add_u32 m0, s56, s57                                     // 000000003D80: 807C3938
	buffer_load_dwordx4 v217, s[20:23], 0 offen lds            // 000000003D84: E05D1000 800500D9
	s_add_i32 m0, m0, 0x3c0                                    // 000000003D8C: 817CFF7C 000003C0
	buffer_load_dwordx4 v217, s[20:23], 0 offen offset:64 lds  // 000000003D94: E05D1040 800500D9
	s_add_i32 m0, m0, 0x3c0                                    // 000000003D9C: 817CFF7C 000003C0
	s_waitcnt lgkmcnt(0)                                       // 000000003DA4: BF8CC07F
	s_barrier                                                  // 000000003DA8: BF8A0000
	v_mfma_f32_32x32x64_f8f6f4 v[108:123], a[88:95], v[60:67], v[108:123]// 000000003DAC: D3AE006C 0DB27958
	ds_read_b32 v35, v40                                       // 000000003DB4: D86C0000 23000028
	ds_read_b32 v36, v40 offset:256                            // 000000003DBC: D86C0100 24000028
	s_waitcnt lgkmcnt(0)                                       // 000000003DC4: BF8CC07F
	v_max3_f32 v213, v35, v36, v213                            // 000000003DC8: D1D300D5 07564923
	v_mov_b32_e32 v35, 0xff800000                              // 000000003DD0: 7E4602FF FF800000
	v_cmp_eq_u32_e64 s[36:37], v35, v2                         // 000000003DD8: D0CA0024 00020523
	v_max_f32_e32 v216, v213, v2                               // 000000003DE0: 17B005D5
	v_sub_f32_e32 v21, v2, v216                                // 000000003DE4: 042BB102
	v_cndmask_b32_e64 v21, v21, 0, s[36:37]                    // 000000003DE8: D1000015 00910115
	v_mfma_f32_32x32x64_f8f6f4 v[124:139], a[96:103], v[60:67], v[124:139]// 000000003DF0: D3AE007C 0DF27960
	buffer_load_dwordx4 v217, s[20:23], 0 offen offset:128 lds // 000000003DF8: E05D1080 800500D9
	s_add_i32 m0, m0, 0x3c0                                    // 000000003E00: 817CFF7C 000003C0
	v_mov_b32_e32 v2, v216                                     // 000000003E08: 7E0403D8
	v_mul_f32_e32 v212, s5, v216                               // 000000003E0C: 0BA9B005
	v_mul_f32_e32 v21, s5, v21                                 // 000000003E10: 0A2A2A05
	v_exp_f32_e32 v21, v21                                     // 000000003E14: 7E2A4115
	v_fma_f32 v44, v44, s5, -v212                              // 000000003E18: D1CB002C 87500B2C
	v_fma_f32 v45, v45, s5, -v212                              // 000000003E20: D1CB002D 87500B2D
	v_fma_f32 v46, v46, s5, -v212                              // 000000003E28: D1CB002E 87500B2E
	v_fma_f32 v47, v47, s5, -v212                              // 000000003E30: D1CB002F 87500B2F
	v_fma_f32 v48, v48, s5, -v212                              // 000000003E38: D1CB0030 87500B30
	v_fma_f32 v49, v49, s5, -v212                              // 000000003E40: D1CB0031 87500B31
	v_fma_f32 v50, v50, s5, -v212                              // 000000003E48: D1CB0032 87500B32
	v_fma_f32 v51, v51, s5, -v212                              // 000000003E50: D1CB0033 87500B33
	v_fma_f32 v52, v52, s5, -v212                              // 000000003E58: D1CB0034 87500B34
	v_mfma_f32_32x32x64_f8f6f4 v[140:155], a[104:111], v[60:67], v[140:155]// 000000003E60: D3AE008C 0E327968
	ds_read_b128 a[80:83], v22 offset:1024                     // 000000003E68: DBFE0400 50000016
	ds_read_b128 a[84:87], v23 offset:1024                     // 000000003E70: DBFE0400 54000017
	ds_read_b128 a[88:91], v22 offset:2048                     // 000000003E78: DBFE0800 58000016
	ds_read_b128 a[92:95], v23 offset:2048                     // 000000003E80: DBFE0800 5C000017
	ds_read_b128 a[96:99], v22 offset:3072                     // 000000003E88: DBFE0C00 60000016
	ds_read_b128 a[100:103], v23 offset:3072                   // 000000003E90: DBFE0C00 64000017
	v_fma_f32 v53, v53, s5, -v212                              // 000000003E98: D1CB0035 87500B35
	v_fma_f32 v54, v54, s5, -v212                              // 000000003EA0: D1CB0036 87500B36
	v_fma_f32 v55, v55, s5, -v212                              // 000000003EA8: D1CB0037 87500B37
	v_fma_f32 v56, v56, s5, -v212                              // 000000003EB0: D1CB0038 87500B38
	v_fma_f32 v57, v57, s5, -v212                              // 000000003EB8: D1CB0039 87500B39
	v_fma_f32 v58, v58, s5, -v212                              // 000000003EC0: D1CB003A 87500B3A
	v_fma_f32 v59, v59, s5, -v212                              // 000000003EC8: D1CB003B 87500B3B
	v_exp_f32_e32 v44, v44                                     // 000000003ED0: 7E58412C
	v_exp_f32_e32 v45, v45                                     // 000000003ED4: 7E5A412D
	v_mfma_f32_32x32x64_f8f6f4 v[156:171], a[112:119], v[60:67], v[156:171]// 000000003ED8: D3AE009C 0E727970
	buffer_load_dwordx4 v217, s[20:23], 0 offen offset:192 lds // 000000003EE0: E05D10C0 800500D9
	s_add_i32 m0, m0, 0x3c0                                    // 000000003EE8: 817CFF7C 000003C0
	v_exp_f32_e32 v46, v46                                     // 000000003EF0: 7E5C412E
	v_exp_f32_e32 v47, v47                                     // 000000003EF4: 7E5E412F
	v_exp_f32_e32 v48, v48                                     // 000000003EF8: 7E604130
	v_exp_f32_e32 v49, v49                                     // 000000003EFC: 7E624131
	v_exp_f32_e32 v50, v50                                     // 000000003F00: 7E644132
	v_exp_f32_e32 v51, v51                                     // 000000003F04: 7E664133
	v_exp_f32_e32 v52, v52                                     // 000000003F08: 7E684134
	v_mfma_f32_32x32x64_f8f6f4 v[172:187], a[120:127], v[60:67], v[172:187]// 000000003F0C: D3AE00AC 0EB27978
	ds_read_b128 a[104:107], v22 offset:4096                   // 000000003F14: DBFE1000 68000016
	ds_read_b128 a[108:111], v23 offset:4096                   // 000000003F1C: DBFE1000 6C000017
	ds_read_b128 a[112:115], v22 offset:5120                   // 000000003F24: DBFE1400 70000016
	ds_read_b128 a[116:119], v23 offset:5120                   // 000000003F2C: DBFE1400 74000017
	ds_read_b128 a[120:123], v22 offset:6144                   // 000000003F34: DBFE1800 78000016
	ds_read_b128 a[124:127], v23 offset:6144                   // 000000003F3C: DBFE1800 7C000017
	v_exp_f32_e32 v53, v53                                     // 000000003F44: 7E6A4135
	v_exp_f32_e32 v54, v54                                     // 000000003F48: 7E6C4136
	v_exp_f32_e32 v55, v55                                     // 000000003F4C: 7E6E4137
	v_exp_f32_e32 v56, v56                                     // 000000003F50: 7E704138
	v_exp_f32_e32 v57, v57                                     // 000000003F54: 7E724139
	v_mfma_f32_32x32x64_f8f6f4 v[188:203], a[128:135], v[60:67], v[188:203]// 000000003F58: D3AE00BC 0EF27980
	ds_read_b128 a[128:131], v22 offset:7168                   // 000000003F60: DBFE1C00 80000016
	ds_read_b128 a[132:135], v23 offset:7168                   // 000000003F68: DBFE1C00 84000017
	ds_read_b128 a[136:139], v22 offset:8192                   // 000000003F70: DBFE2000 88000016
	ds_read_b128 a[140:143], v23 offset:8192                   // 000000003F78: DBFE2000 8C000017
	v_exp_f32_e32 v58, v58                                     // 000000003F80: 7E74413A
	v_exp_f32_e32 v59, v59                                     // 000000003F84: 7E76413B
	v_mul_f32_e32 v4, v21, v4                                  // 000000003F88: 0A080915
	v_mov_b32_e32 v35, v44                                     // 000000003F8C: 7E46032C
	v_add_f32_e32 v35, v45, v35                                // 000000003F90: 0246472D
	v_add_f32_e32 v35, v46, v35                                // 000000003F94: 0246472E
	v_add_f32_e32 v35, v47, v35                                // 000000003F98: 0246472F
	v_add_f32_e32 v35, v48, v35                                // 000000003F9C: 02464730
	v_add_f32_e32 v35, v49, v35                                // 000000003FA0: 02464731
	v_add_f32_e32 v35, v50, v35                                // 000000003FA4: 02464732
	v_add_f32_e32 v35, v51, v35                                // 000000003FA8: 02464733
	v_add_f32_e32 v35, v52, v35                                // 000000003FAC: 02464734
	v_add_f32_e32 v35, v53, v35                                // 000000003FB0: 02464735
	v_add_f32_e32 v35, v54, v35                                // 000000003FB4: 02464736
	v_add_f32_e32 v35, v55, v35                                // 000000003FB8: 02464737
	v_add_f32_e32 v35, v56, v35                                // 000000003FBC: 02464738
	v_add_f32_e32 v35, v57, v35                                // 000000003FC0: 02464739
	v_add_f32_e32 v35, v58, v35                                // 000000003FC4: 0246473A
	v_add_f32_e32 v35, v59, v35                                // 000000003FC8: 0246473B
	v_add_f32_e32 v4, v35, v4                                  // 000000003FCC: 02080923
	v_cvt_pk_fp8_f32 v44, v44, v45                             // 000000003FD0: D2A2002C 00025B2C
	v_cvt_pk_fp8_f32 v44, v46, v47 op_sel:[0,0,1]              // 000000003FD8: D2A2402C 00025F2E
	v_cvt_pk_fp8_f32 v45, v48, v49                             // 000000003FE0: D2A2002D 00026330
	v_cvt_pk_fp8_f32 v45, v50, v51 op_sel:[0,0,1]              // 000000003FE8: D2A2402D 00026732
	v_cvt_pk_fp8_f32 v46, v52, v53                             // 000000003FF0: D2A2002E 00026B34
	v_cvt_pk_fp8_f32 v46, v54, v55 op_sel:[0,0,1]              // 000000003FF8: D2A2402E 00026F36
	v_cvt_pk_fp8_f32 v47, v56, v57                             // 000000004000: D2A2002F 00027338
	v_cvt_pk_fp8_f32 v47, v58, v59 op_sel:[0,0,1]              // 000000004008: D2A2402F 0002773A
	s_waitcnt lgkmcnt(8)                                       // 000000004010: BF8CC87F
	v_mfma_f32_32x32x64_f8f6f4 v[60:75], a[72:79], a[0:7], 0   // 000000004014: D3AE003C 1A020148
	ds_write_b128 v43, v[44:47] offset:1024                    // 00000000401C: D9BE0400 00002C2B
	buffer_load_dword v33, v34, s[24:27], 0 offen              // 000000004024: E0501000 80062122
	buffer_load_dwordx4 v217, s[20:23], 0 offen offset:256 lds // 00000000402C: E05D1100 800500D9
	s_add_i32 m0, m0, 0x3c0                                    // 000000004034: 817CFF7C 000003C0
	v_mul_f32_e32 v76, v21, v76                                // 00000000403C: 0A989915
	v_mul_f32_e32 v77, v21, v77                                // 000000004040: 0A9A9B15
	v_mul_f32_e32 v78, v21, v78                                // 000000004044: 0A9C9D15
	v_mul_f32_e32 v79, v21, v79                                // 000000004048: 0A9E9F15
	v_mul_f32_e32 v80, v21, v80                                // 00000000404C: 0AA0A115
	v_mul_f32_e32 v81, v21, v81                                // 000000004050: 0AA2A315
	v_mul_f32_e32 v82, v21, v82                                // 000000004054: 0AA4A515
	v_mul_f32_e32 v83, v21, v83                                // 000000004058: 0AA6A715
	v_mul_f32_e32 v84, v21, v84                                // 00000000405C: 0AA8A915
	v_mfma_f32_32x32x64_f8f6f4 v[60:75], a[80:87], a[8:15], v[60:75]// 000000004060: D3AE003C 1CF21150
	ds_read_b64_tr_b8 a[72:73], v17                            // 000000004068: DBC40000 48000011
	ds_read_b64_tr_b8 a[74:75], v18                            // 000000004070: DBC40000 4A000012
	ds_read_b64_tr_b8 a[76:77], v17 offset:18432               // 000000004078: DBC44800 4C000011
	ds_read_b64_tr_b8 a[78:79], v18 offset:18432               // 000000004080: DBC44800 4E000012
	ds_read_b64_tr_b8 a[80:81], v19                            // 000000004088: DBC40000 50000013
	ds_read_b64_tr_b8 a[82:83], v20                            // 000000004090: DBC40000 52000014
	ds_read_b64_tr_b8 a[84:85], v19 offset:18432               // 000000004098: DBC44800 54000013
	ds_read_b64_tr_b8 a[86:87], v20 offset:18432               // 0000000040A0: DBC44800 56000014
	v_mul_f32_e32 v85, v21, v85                                // 0000000040A8: 0AAAAB15
	v_mul_f32_e32 v86, v21, v86                                // 0000000040AC: 0AACAD15
	v_mul_f32_e32 v87, v21, v87                                // 0000000040B0: 0AAEAF15
	v_mul_f32_e32 v88, v21, v88                                // 0000000040B4: 0AB0B115
	v_mul_f32_e32 v89, v21, v89                                // 0000000040B8: 0AB2B315
	v_mul_f32_e32 v90, v21, v90                                // 0000000040BC: 0AB4B515
	v_mul_f32_e32 v91, v21, v91                                // 0000000040C0: 0AB6B715
	v_mul_f32_e32 v92, v21, v92                                // 0000000040C4: 0AB8B915
	v_mul_f32_e32 v93, v21, v93                                // 0000000040C8: 0ABABB15
	v_mul_f32_e32 v94, v21, v94                                // 0000000040CC: 0ABCBD15
	v_mul_f32_e32 v95, v21, v95                                // 0000000040D0: 0ABEBF15
	v_mul_f32_e32 v96, v21, v96                                // 0000000040D4: 0AC0C115
	s_waitcnt lgkmcnt(0)                                       // 0000000040D8: BF8CC07F
	s_barrier                                                  // 0000000040DC: BF8A0000
	v_mfma_f32_32x32x64_f8f6f4 v[60:75], a[88:95], a[16:23], v[60:75]// 0000000040E0: D3AE003C 1CF22158
	ds_read_b128 v[44:47], v42 offset:1024                     // 0000000040E8: D9FE0400 2C00002A
	ds_read_b128 v[48:51], v42 offset:2048                     // 0000000040F0: D9FE0800 3000002A
	buffer_load_dwordx4 v217, s[20:23], 0 offen offset:320 lds // 0000000040F8: E05D1140 800500D9
	s_add_i32 m0, m0, 0x3c0                                    // 000000004100: 817CFF7C 000003C0
	v_mul_f32_e32 v97, v21, v97                                // 000000004108: 0AC2C315
	v_mul_f32_e32 v98, v21, v98                                // 00000000410C: 0AC4C515
	v_mul_f32_e32 v99, v21, v99                                // 000000004110: 0AC6C715
	v_mul_f32_e32 v100, v21, v100                              // 000000004114: 0AC8C915
	v_mul_f32_e32 v101, v21, v101                              // 000000004118: 0ACACB15
	v_mul_f32_e32 v102, v21, v102                              // 00000000411C: 0ACCCD15
	v_mul_f32_e32 v103, v21, v103                              // 000000004120: 0ACECF15
	v_mul_f32_e32 v104, v21, v104                              // 000000004124: 0AD0D115
	v_mul_f32_e32 v105, v21, v105                              // 000000004128: 0AD2D315
	v_mul_f32_e32 v106, v21, v106                              // 00000000412C: 0AD4D515
	v_mul_f32_e32 v107, v21, v107                              // 000000004130: 0AD6D715
	v_mul_f32_e32 v108, v21, v108                              // 000000004134: 0AD8D915
	v_add_u32_e32 v34, s73, v34                                // 000000004138: 68444449
	v_mfma_f32_32x32x64_f8f6f4 v[60:75], a[96:103], a[24:31], v[60:75]// 00000000413C: D3AE003C 1CF23160
	ds_read_b64_tr_b8 a[88:89], v17 offset:1024                // 000000004144: DBC40400 58000011
	ds_read_b64_tr_b8 a[90:91], v18 offset:1024                // 00000000414C: DBC40400 5A000012
	ds_read_b64_tr_b8 a[92:93], v17 offset:19456               // 000000004154: DBC44C00 5C000011
	ds_read_b64_tr_b8 a[94:95], v18 offset:19456               // 00000000415C: DBC44C00 5E000012
	ds_read_b64_tr_b8 a[96:97], v19 offset:1024                // 000000004164: DBC40400 60000013
	ds_read_b64_tr_b8 a[98:99], v20 offset:1024                // 00000000416C: DBC40400 62000014
	ds_read_b64_tr_b8 a[100:101], v19 offset:19456             // 000000004174: DBC44C00 64000013
	ds_read_b64_tr_b8 a[102:103], v20 offset:19456             // 00000000417C: DBC44C00 66000014
	v_mul_f32_e32 v109, v21, v109                              // 000000004184: 0ADADB15
	v_mul_f32_e32 v110, v21, v110                              // 000000004188: 0ADCDD15
	v_mul_f32_e32 v111, v21, v111                              // 00000000418C: 0ADEDF15
	v_mul_f32_e32 v112, v21, v112                              // 000000004190: 0AE0E115
	v_mul_f32_e32 v113, v21, v113                              // 000000004194: 0AE2E315
	v_mul_f32_e32 v114, v21, v114                              // 000000004198: 0AE4E515
	v_mul_f32_e32 v115, v21, v115                              // 00000000419C: 0AE6E715
	v_mul_f32_e32 v116, v21, v116                              // 0000000041A0: 0AE8E915
	v_mul_f32_e32 v117, v21, v117                              // 0000000041A4: 0AEAEB15
	v_mul_f32_e32 v118, v21, v118                              // 0000000041A8: 0AECED15
	v_mul_f32_e32 v119, v21, v119                              // 0000000041AC: 0AEEEF15
	v_mul_f32_e32 v120, v21, v120                              // 0000000041B0: 0AF0F115
	v_mfma_f32_32x32x64_f8f6f4 v[60:75], a[104:111], a[32:39], v[60:75]// 0000000041B4: D3AE003C 1CF24168
	buffer_load_dwordx4 v217, s[20:23], 0 offen offset:384 lds // 0000000041BC: E05D1180 800500D9
	s_add_i32 m0, m0, 0x3c0                                    // 0000000041C4: 817CFF7C 000003C0
	v_mul_f32_e32 v121, v21, v121                              // 0000000041CC: 0AF2F315
	v_mul_f32_e32 v122, v21, v122                              // 0000000041D0: 0AF4F515
	v_mul_f32_e32 v123, v21, v123                              // 0000000041D4: 0AF6F715
	v_mul_f32_e32 v124, v21, v124                              // 0000000041D8: 0AF8F915
	v_mul_f32_e32 v125, v21, v125                              // 0000000041DC: 0AFAFB15
	v_mul_f32_e32 v126, v21, v126                              // 0000000041E0: 0AFCFD15
	v_mul_f32_e32 v127, v21, v127                              // 0000000041E4: 0AFEFF15
	v_mul_f32_e32 v128, v21, v128                              // 0000000041E8: 0B010115
	v_mul_f32_e32 v129, v21, v129                              // 0000000041EC: 0B030315
	v_mul_f32_e32 v130, v21, v130                              // 0000000041F0: 0B050515
	v_mul_f32_e32 v131, v21, v131                              // 0000000041F4: 0B070715
	v_mul_f32_e32 v132, v21, v132                              // 0000000041F8: 0B090915
	v_mfma_f32_32x32x64_f8f6f4 v[60:75], a[112:119], a[40:47], v[60:75]// 0000000041FC: D3AE003C 1CF25170
	s_waitcnt lgkmcnt(0)                                       // 000000004204: BF8CC07F
	ds_read_b64_tr_b8 a[104:105], v17 offset:2048              // 000000004208: DBC40800 68000011
	ds_read_b64_tr_b8 a[106:107], v18 offset:2048              // 000000004210: DBC40800 6A000012
	ds_read_b64_tr_b8 a[108:109], v17 offset:20480             // 000000004218: DBC45000 6C000011
	ds_read_b64_tr_b8 a[110:111], v18 offset:20480             // 000000004220: DBC45000 6E000012
	ds_read_b64_tr_b8 a[112:113], v19 offset:2048              // 000000004228: DBC40800 70000013
	ds_read_b64_tr_b8 a[114:115], v20 offset:2048              // 000000004230: DBC40800 72000014
	ds_read_b64_tr_b8 a[116:117], v19 offset:20480             // 000000004238: DBC45000 74000013
	ds_read_b64_tr_b8 a[118:119], v20 offset:20480             // 000000004240: DBC45000 76000014
	v_mul_f32_e32 v133, v21, v133                              // 000000004248: 0B0B0B15
	v_mul_f32_e32 v134, v21, v134                              // 00000000424C: 0B0D0D15
	v_mul_f32_e32 v135, v21, v135                              // 000000004250: 0B0F0F15
	v_mul_f32_e32 v136, v21, v136                              // 000000004254: 0B111115
	v_mul_f32_e32 v137, v21, v137                              // 000000004258: 0B131315
	v_mul_f32_e32 v138, v21, v138                              // 00000000425C: 0B151515
	v_mul_f32_e32 v139, v21, v139                              // 000000004260: 0B171715
	v_mfma_f32_32x32x64_f8f6f4 v[60:75], a[120:127], a[48:55], v[60:75]// 000000004264: D3AE003C 1CF26178
	buffer_load_dwordx4 v217, s[20:23], 0 offen offset:448 lds // 00000000426C: E05D11C0 800500D9
	s_add_i32 m0, m0, 0x3c0                                    // 000000004274: 817CFF7C 000003C0
	v_permlane32_swap_b32_e32 v44, v46                         // 00000000427C: 7E58B52E
	v_permlane32_swap_b32_e32 v45, v47                         // 000000004280: 7E5AB52F
	v_swap_b32 v45, v46                                        // 000000004284: 7E5AA32E
	v_permlane32_swap_b32_e32 v48, v50                         // 000000004288: 7E60B532
	v_permlane32_swap_b32_e32 v49, v51                         // 00000000428C: 7E62B533
	v_swap_b32 v49, v50                                        // 000000004290: 7E62A332
	v_mfma_f32_32x32x64_f8f6f4 v[60:75], a[128:135], a[56:63], v[60:75]// 000000004294: D3AE003C 1CF27180
	ds_read_b64_tr_b8 a[120:121], v17 offset:3072              // 00000000429C: DBC40C00 78000011
	ds_read_b64_tr_b8 a[122:123], v18 offset:3072              // 0000000042A4: DBC40C00 7A000012
	ds_read_b64_tr_b8 a[124:125], v17 offset:21504             // 0000000042AC: DBC45400 7C000011
	ds_read_b64_tr_b8 a[126:127], v18 offset:21504             // 0000000042B4: DBC45400 7E000012
	ds_read_b64_tr_b8 a[128:129], v19 offset:3072              // 0000000042BC: DBC40C00 80000013
	ds_read_b64_tr_b8 a[130:131], v20 offset:3072              // 0000000042C4: DBC40C00 82000014
	ds_read_b64_tr_b8 a[132:133], v19 offset:21504             // 0000000042CC: DBC45400 84000013
	ds_read_b64_tr_b8 a[134:135], v20 offset:21504             // 0000000042D4: DBC45400 86000014
	v_mov_b32_e32 v36, v21                                     // 0000000042DC: 7E480315
	v_mov_b32_e32 v37, v21                                     // 0000000042E0: 7E4A0315
	v_pk_mul_f32 v[140:141], v[36:37], v[140:141]              // 0000000042E4: D3B1408C 18031924
	v_pk_mul_f32 v[142:143], v[36:37], v[142:143]              // 0000000042EC: D3B1408E 18031D24
	v_pk_mul_f32 v[144:145], v[36:37], v[144:145]              // 0000000042F4: D3B14090 18032124
	v_pk_mul_f32 v[146:147], v[36:37], v[146:147]              // 0000000042FC: D3B14092 18032524
	v_pk_mul_f32 v[148:149], v[36:37], v[148:149]              // 000000004304: D3B14094 18032924
	v_pk_mul_f32 v[150:151], v[36:37], v[150:151]              // 00000000430C: D3B14096 18032D24
	v_pk_mul_f32 v[152:153], v[36:37], v[152:153]              // 000000004314: D3B14098 18033124
	v_pk_mul_f32 v[154:155], v[36:37], v[154:155]              // 00000000431C: D3B1409A 18033524
	v_pk_mul_f32 v[156:157], v[36:37], v[156:157]              // 000000004324: D3B1409C 18033924
	v_pk_mul_f32 v[158:159], v[36:37], v[158:159]              // 00000000432C: D3B1409E 18033D24
	v_pk_mul_f32 v[160:161], v[36:37], v[160:161]              // 000000004334: D3B140A0 18034124
	v_pk_mul_f32 v[162:163], v[36:37], v[162:163]              // 00000000433C: D3B140A2 18034524
	v_pk_mul_f32 v[164:165], v[36:37], v[164:165]              // 000000004344: D3B140A4 18034924
	v_pk_mul_f32 v[166:167], v[36:37], v[166:167]              // 00000000434C: D3B140A6 18034D24
	v_pk_mul_f32 v[168:169], v[36:37], v[168:169]              // 000000004354: D3B140A8 18035124
	v_pk_mul_f32 v[170:171], v[36:37], v[170:171]              // 00000000435C: D3B140AA 18035524
	v_pk_mul_f32 v[172:173], v[36:37], v[172:173]              // 000000004364: D3B140AC 18035924
	v_pk_mul_f32 v[174:175], v[36:37], v[174:175]              // 00000000436C: D3B140AE 18035D24
	v_pk_mul_f32 v[176:177], v[36:37], v[176:177]              // 000000004374: D3B140B0 18036124
	v_pk_mul_f32 v[178:179], v[36:37], v[178:179]              // 00000000437C: D3B140B2 18036524
	v_pk_mul_f32 v[180:181], v[36:37], v[180:181]              // 000000004384: D3B140B4 18036924
	v_pk_mul_f32 v[182:183], v[36:37], v[182:183]              // 00000000438C: D3B140B6 18036D24
	v_pk_mul_f32 v[184:185], v[36:37], v[184:185]              // 000000004394: D3B140B8 18037124
	v_pk_mul_f32 v[186:187], v[36:37], v[186:187]              // 00000000439C: D3B140BA 18037524
	v_pk_mul_f32 v[188:189], v[36:37], v[188:189]              // 0000000043A4: D3B140BC 18037924
	v_pk_mul_f32 v[190:191], v[36:37], v[190:191]              // 0000000043AC: D3B140BE 18037D24
	v_pk_mul_f32 v[192:193], v[36:37], v[192:193]              // 0000000043B4: D3B140C0 18038124
	v_pk_mul_f32 v[194:195], v[36:37], v[194:195]              // 0000000043BC: D3B140C2 18038524
	v_pk_mul_f32 v[196:197], v[36:37], v[196:197]              // 0000000043C4: D3B140C4 18038924
	v_pk_mul_f32 v[198:199], v[36:37], v[198:199]              // 0000000043CC: D3B140C6 18038D24
	v_pk_mul_f32 v[200:201], v[36:37], v[200:201]              // 0000000043D4: D3B140C8 18039124
	v_pk_mul_f32 v[202:203], v[36:37], v[202:203]              // 0000000043DC: D3B140CA 18039524
	v_mfma_f32_32x32x64_f8f6f4 v[60:75], a[136:143], a[64:71], v[60:75]// 0000000043E4: D3AE003C 1CF28188
	buffer_load_dwordx4 v217, s[20:23], 0 offen offset:512 lds // 0000000043EC: E05D1200 800500D9
	s_add_i32 m0, m0, 0x3c0                                    // 0000000043F4: 817CFF7C 000003C0
	s_addk_i32 s70, 0x1                                        // 0000000043FC: B7460001
	s_cmp_lt_i32 s70, s71                                      // 000000004400: BF044746
	s_cbranch_scc0 label_2F74                                  // 000000004404: BF84039B
	v_mul_u32_u24_e64 v217, v32, s68                           // 000000004408: D10800D9 00008920
	v_add_u32_e32 v217, v217, v1                               // 000000004410: 69B203D9
	s_waitcnt vmcnt(10)                                        // 000000004414: BF8C0F7A
	s_barrier                                                  // 000000004418: BF8A0000
	s_waitcnt lgkmcnt(8)                                       // 00000000441C: BF8CC87F
	v_mfma_f32_32x32x64_f8f6f4 v[76:91], a[72:79], v[44:51], v[76:91]// 000000004420: D3AE004C 0D325948
	ds_read_b128 a[72:75], v24                                 // 000000004428: DBFE0000 48000018
	ds_read_b128 a[76:79], v25                                 // 000000004430: DBFE0000 4C000019
	v_mov_b32_e32 v213, v60                                    // 000000004438: 7FAA033C
	v_max3_f32 v213, v60, v61, v213                            // 00000000443C: D1D300D5 07567B3C
	v_max3_f32 v213, v62, v63, v213                            // 000000004444: D1D300D5 07567F3E
	v_max3_f32 v213, v64, v65, v213                            // 00000000444C: D1D300D5 07568340
	v_max3_f32 v213, v66, v67, v213                            // 000000004454: D1D300D5 07568742
	v_max3_f32 v213, v68, v69, v213                            // 00000000445C: D1D300D5 07568B44
	v_max3_f32 v213, v70, v71, v213                            // 000000004464: D1D300D5 07568F46
	v_max3_f32 v213, v72, v73, v213                            // 00000000446C: D1D300D5 07569348
	v_max3_f32 v213, v74, v75, v213                            // 000000004474: D1D300D5 0756974A
	v_mov_b32_e32 v35, v213                                    // 00000000447C: 7E4603D5
	v_mov_b32_e32 v36, v213                                    // 000000004480: 7E4803D5
	s_nop 0                                                    // 000000004484: BF800000
	v_mfma_f32_32x32x64_f8f6f4 v[92:107], a[80:87], v[44:51], v[92:107]// 000000004488: D3AE005C 0D725950
	v_permlane32_swap_b32_e32 v35, v36                         // 000000004490: 7E46B524
	v_max3_f32 v213, v35, v36, v213                            // 000000004494: D1D300D5 07564923
	ds_write_b32 v41, v213                                     // 00000000449C: D81A0000 0000D529
	s_mov_b32 s56, 0x1d000                                     // 0000000044A4: BEB800FF 0001D000
	s_mul_i32 s57, s7, 0x2400                                  // 0000000044AC: 9239FF07 00002400
	s_add_u32 m0, s56, s57                                     // 0000000044B4: 807C3938
	buffer_load_dwordx4 v217, s[20:23], 0 offen lds            // 0000000044B8: E05D1000 800500D9
	s_add_i32 m0, m0, 0x3c0                                    // 0000000044C0: 817CFF7C 000003C0
	buffer_load_dwordx4 v217, s[20:23], 0 offen offset:64 lds  // 0000000044C8: E05D1040 800500D9
	s_add_i32 m0, m0, 0x3c0                                    // 0000000044D0: 817CFF7C 000003C0
	s_waitcnt lgkmcnt(0)                                       // 0000000044D8: BF8CC07F
	s_barrier                                                  // 0000000044DC: BF8A0000
	v_mfma_f32_32x32x64_f8f6f4 v[108:123], a[88:95], v[44:51], v[108:123]// 0000000044E0: D3AE006C 0DB25958
	ds_read_b32 v35, v40                                       // 0000000044E8: D86C0000 23000028
	ds_read_b32 v36, v40 offset:256                            // 0000000044F0: D86C0100 24000028
	s_waitcnt lgkmcnt(0)                                       // 0000000044F8: BF8CC07F
	v_max3_f32 v213, v35, v36, v213                            // 0000000044FC: D1D300D5 07564923
	v_mov_b32_e32 v35, 0xff800000                              // 000000004504: 7E4602FF FF800000
	v_cmp_eq_u32_e64 s[36:37], v35, v2                         // 00000000450C: D0CA0024 00020523
	v_max_f32_e32 v216, v213, v2                               // 000000004514: 17B005D5
	v_sub_f32_e32 v21, v2, v216                                // 000000004518: 042BB102
	v_cndmask_b32_e64 v21, v21, 0, s[36:37]                    // 00000000451C: D1000015 00910115
	v_mfma_f32_32x32x64_f8f6f4 v[124:139], a[96:103], v[44:51], v[124:139]// 000000004524: D3AE007C 0DF25960
	buffer_load_dwordx4 v217, s[20:23], 0 offen offset:128 lds // 00000000452C: E05D1080 800500D9
	s_add_i32 m0, m0, 0x3c0                                    // 000000004534: 817CFF7C 000003C0
	v_mov_b32_e32 v2, v216                                     // 00000000453C: 7E0403D8
	v_mul_f32_e32 v212, s5, v216                               // 000000004540: 0BA9B005
	v_mul_f32_e32 v21, s5, v21                                 // 000000004544: 0A2A2A05
	v_exp_f32_e32 v21, v21                                     // 000000004548: 7E2A4115
	v_fma_f32 v60, v60, s5, -v212                              // 00000000454C: D1CB003C 87500B3C
	v_fma_f32 v61, v61, s5, -v212                              // 000000004554: D1CB003D 87500B3D
	v_fma_f32 v62, v62, s5, -v212                              // 00000000455C: D1CB003E 87500B3E
	v_fma_f32 v63, v63, s5, -v212                              // 000000004564: D1CB003F 87500B3F
	v_fma_f32 v64, v64, s5, -v212                              // 00000000456C: D1CB0040 87500B40
	v_fma_f32 v65, v65, s5, -v212                              // 000000004574: D1CB0041 87500B41
	v_fma_f32 v66, v66, s5, -v212                              // 00000000457C: D1CB0042 87500B42
	v_fma_f32 v67, v67, s5, -v212                              // 000000004584: D1CB0043 87500B43
	v_fma_f32 v68, v68, s5, -v212                              // 00000000458C: D1CB0044 87500B44
	v_mfma_f32_32x32x64_f8f6f4 v[140:155], a[104:111], v[44:51], v[140:155]// 000000004594: D3AE008C 0E325968
	ds_read_b128 a[80:83], v24 offset:1024                     // 00000000459C: DBFE0400 50000018
	ds_read_b128 a[84:87], v25 offset:1024                     // 0000000045A4: DBFE0400 54000019
	ds_read_b128 a[88:91], v24 offset:2048                     // 0000000045AC: DBFE0800 58000018
	ds_read_b128 a[92:95], v25 offset:2048                     // 0000000045B4: DBFE0800 5C000019
	ds_read_b128 a[96:99], v24 offset:3072                     // 0000000045BC: DBFE0C00 60000018
	ds_read_b128 a[100:103], v25 offset:3072                   // 0000000045C4: DBFE0C00 64000019
	v_fma_f32 v69, v69, s5, -v212                              // 0000000045CC: D1CB0045 87500B45
	v_fma_f32 v70, v70, s5, -v212                              // 0000000045D4: D1CB0046 87500B46
	v_fma_f32 v71, v71, s5, -v212                              // 0000000045DC: D1CB0047 87500B47
	v_fma_f32 v72, v72, s5, -v212                              // 0000000045E4: D1CB0048 87500B48
	v_fma_f32 v73, v73, s5, -v212                              // 0000000045EC: D1CB0049 87500B49
	v_fma_f32 v74, v74, s5, -v212                              // 0000000045F4: D1CB004A 87500B4A
	v_fma_f32 v75, v75, s5, -v212                              // 0000000045FC: D1CB004B 87500B4B
	v_exp_f32_e32 v60, v60                                     // 000000004604: 7E78413C
	v_exp_f32_e32 v61, v61                                     // 000000004608: 7E7A413D
	v_mfma_f32_32x32x64_f8f6f4 v[156:171], a[112:119], v[44:51], v[156:171]// 00000000460C: D3AE009C 0E725970
	buffer_load_dwordx4 v217, s[20:23], 0 offen offset:192 lds // 000000004614: E05D10C0 800500D9
	s_add_i32 m0, m0, 0x3c0                                    // 00000000461C: 817CFF7C 000003C0
	v_exp_f32_e32 v62, v62                                     // 000000004624: 7E7C413E
	v_exp_f32_e32 v63, v63                                     // 000000004628: 7E7E413F
	v_exp_f32_e32 v64, v64                                     // 00000000462C: 7E804140
	v_exp_f32_e32 v65, v65                                     // 000000004630: 7E824141
	v_exp_f32_e32 v66, v66                                     // 000000004634: 7E844142
	v_exp_f32_e32 v67, v67                                     // 000000004638: 7E864143
	v_exp_f32_e32 v68, v68                                     // 00000000463C: 7E884144
	v_mfma_f32_32x32x64_f8f6f4 v[172:187], a[120:127], v[44:51], v[172:187]// 000000004640: D3AE00AC 0EB25978
	ds_read_b128 a[104:107], v24 offset:4096                   // 000000004648: DBFE1000 68000018
	ds_read_b128 a[108:111], v25 offset:4096                   // 000000004650: DBFE1000 6C000019
	ds_read_b128 a[112:115], v24 offset:5120                   // 000000004658: DBFE1400 70000018
	ds_read_b128 a[116:119], v25 offset:5120                   // 000000004660: DBFE1400 74000019
	ds_read_b128 a[120:123], v24 offset:6144                   // 000000004668: DBFE1800 78000018
	ds_read_b128 a[124:127], v25 offset:6144                   // 000000004670: DBFE1800 7C000019
	v_exp_f32_e32 v69, v69                                     // 000000004678: 7E8A4145
	v_exp_f32_e32 v70, v70                                     // 00000000467C: 7E8C4146
	v_exp_f32_e32 v71, v71                                     // 000000004680: 7E8E4147
	v_exp_f32_e32 v72, v72                                     // 000000004684: 7E904148
	v_exp_f32_e32 v73, v73                                     // 000000004688: 7E924149
	v_mfma_f32_32x32x64_f8f6f4 v[188:203], a[128:135], v[44:51], v[188:203]// 00000000468C: D3AE00BC 0EF25980
	ds_read_b128 a[128:131], v24 offset:7168                   // 000000004694: DBFE1C00 80000018
	ds_read_b128 a[132:135], v25 offset:7168                   // 00000000469C: DBFE1C00 84000019
	ds_read_b128 a[136:139], v24 offset:8192                   // 0000000046A4: DBFE2000 88000018
	ds_read_b128 a[140:143], v25 offset:8192                   // 0000000046AC: DBFE2000 8C000019
	v_exp_f32_e32 v74, v74                                     // 0000000046B4: 7E94414A
	v_exp_f32_e32 v75, v75                                     // 0000000046B8: 7E96414B
	v_mul_f32_e32 v4, v21, v4                                  // 0000000046BC: 0A080915
	v_mov_b32_e32 v35, v60                                     // 0000000046C0: 7E46033C
	v_add_f32_e32 v35, v61, v35                                // 0000000046C4: 0246473D
	v_add_f32_e32 v35, v62, v35                                // 0000000046C8: 0246473E
	v_add_f32_e32 v35, v63, v35                                // 0000000046CC: 0246473F
	v_add_f32_e32 v35, v64, v35                                // 0000000046D0: 02464740
	v_add_f32_e32 v35, v65, v35                                // 0000000046D4: 02464741
	v_add_f32_e32 v35, v66, v35                                // 0000000046D8: 02464742
	v_add_f32_e32 v35, v67, v35                                // 0000000046DC: 02464743
	v_add_f32_e32 v35, v68, v35                                // 0000000046E0: 02464744
	v_add_f32_e32 v35, v69, v35                                // 0000000046E4: 02464745
	v_add_f32_e32 v35, v70, v35                                // 0000000046E8: 02464746
	v_add_f32_e32 v35, v71, v35                                // 0000000046EC: 02464747
	v_add_f32_e32 v35, v72, v35                                // 0000000046F0: 02464748
	v_add_f32_e32 v35, v73, v35                                // 0000000046F4: 02464749
	v_add_f32_e32 v35, v74, v35                                // 0000000046F8: 0246474A
	v_add_f32_e32 v35, v75, v35                                // 0000000046FC: 0246474B
	v_add_f32_e32 v4, v35, v4                                  // 000000004700: 02080923
	v_cvt_pk_fp8_f32 v60, v60, v61                             // 000000004704: D2A2003C 00027B3C
	v_cvt_pk_fp8_f32 v60, v62, v63 op_sel:[0,0,1]              // 00000000470C: D2A2403C 00027F3E
	v_cvt_pk_fp8_f32 v61, v64, v65                             // 000000004714: D2A2003D 00028340
	v_cvt_pk_fp8_f32 v61, v66, v67 op_sel:[0,0,1]              // 00000000471C: D2A2403D 00028742
	v_cvt_pk_fp8_f32 v62, v68, v69                             // 000000004724: D2A2003E 00028B44
	v_cvt_pk_fp8_f32 v62, v70, v71 op_sel:[0,0,1]              // 00000000472C: D2A2403E 00028F46
	v_cvt_pk_fp8_f32 v63, v72, v73                             // 000000004734: D2A2003F 00029348
	v_cvt_pk_fp8_f32 v63, v74, v75 op_sel:[0,0,1]              // 00000000473C: D2A2403F 0002974A
	s_waitcnt lgkmcnt(8)                                       // 000000004744: BF8CC87F
	v_mfma_f32_32x32x64_f8f6f4 v[44:59], a[72:79], a[0:7], 0   // 000000004748: D3AE002C 1A020148
	ds_write_b128 v43, v[60:63] offset:1024                    // 000000004750: D9BE0400 00003C2B
	buffer_load_dword v30, v34, s[24:27], 0 offen              // 000000004758: E0501000 80061E22
	buffer_load_dwordx4 v217, s[20:23], 0 offen offset:256 lds // 000000004760: E05D1100 800500D9
	s_add_i32 m0, m0, 0x3c0                                    // 000000004768: 817CFF7C 000003C0
	v_mul_f32_e32 v76, v21, v76                                // 000000004770: 0A989915
	v_mul_f32_e32 v77, v21, v77                                // 000000004774: 0A9A9B15
	v_mul_f32_e32 v78, v21, v78                                // 000000004778: 0A9C9D15
	v_mul_f32_e32 v79, v21, v79                                // 00000000477C: 0A9E9F15
	v_mul_f32_e32 v80, v21, v80                                // 000000004780: 0AA0A115
	v_mul_f32_e32 v81, v21, v81                                // 000000004784: 0AA2A315
	v_mul_f32_e32 v82, v21, v82                                // 000000004788: 0AA4A515
	v_mul_f32_e32 v83, v21, v83                                // 00000000478C: 0AA6A715
	v_mul_f32_e32 v84, v21, v84                                // 000000004790: 0AA8A915
	v_mfma_f32_32x32x64_f8f6f4 v[44:59], a[80:87], a[8:15], v[44:59]// 000000004794: D3AE002C 1CB21150
	ds_read_b64_tr_b8 a[72:73], v5                             // 00000000479C: DBC40000 48000005
	ds_read_b64_tr_b8 a[74:75], v6                             // 0000000047A4: DBC40000 4A000006
	ds_read_b64_tr_b8 a[76:77], v5 offset:18432                // 0000000047AC: DBC44800 4C000005
	ds_read_b64_tr_b8 a[78:79], v6 offset:18432                // 0000000047B4: DBC44800 4E000006
	ds_read_b64_tr_b8 a[80:81], v7                             // 0000000047BC: DBC40000 50000007
	ds_read_b64_tr_b8 a[82:83], v8                             // 0000000047C4: DBC40000 52000008
	ds_read_b64_tr_b8 a[84:85], v7 offset:18432                // 0000000047CC: DBC44800 54000007
	ds_read_b64_tr_b8 a[86:87], v8 offset:18432                // 0000000047D4: DBC44800 56000008
	v_mul_f32_e32 v85, v21, v85                                // 0000000047DC: 0AAAAB15
	v_mul_f32_e32 v86, v21, v86                                // 0000000047E0: 0AACAD15
	v_mul_f32_e32 v87, v21, v87                                // 0000000047E4: 0AAEAF15
	v_mul_f32_e32 v88, v21, v88                                // 0000000047E8: 0AB0B115
	v_mul_f32_e32 v89, v21, v89                                // 0000000047EC: 0AB2B315
	v_mul_f32_e32 v90, v21, v90                                // 0000000047F0: 0AB4B515
	v_mul_f32_e32 v91, v21, v91                                // 0000000047F4: 0AB6B715
	v_mul_f32_e32 v92, v21, v92                                // 0000000047F8: 0AB8B915
	v_mul_f32_e32 v93, v21, v93                                // 0000000047FC: 0ABABB15
	v_mul_f32_e32 v94, v21, v94                                // 000000004800: 0ABCBD15
	v_mul_f32_e32 v95, v21, v95                                // 000000004804: 0ABEBF15
	v_mul_f32_e32 v96, v21, v96                                // 000000004808: 0AC0C115
	s_waitcnt lgkmcnt(0)                                       // 00000000480C: BF8CC07F
	s_barrier                                                  // 000000004810: BF8A0000
	v_mfma_f32_32x32x64_f8f6f4 v[44:59], a[88:95], a[16:23], v[44:59]// 000000004814: D3AE002C 1CB22158
	ds_read_b128 v[60:63], v42 offset:1024                     // 00000000481C: D9FE0400 3C00002A
	ds_read_b128 v[64:67], v42 offset:2048                     // 000000004824: D9FE0800 4000002A
	buffer_load_dwordx4 v217, s[20:23], 0 offen offset:320 lds // 00000000482C: E05D1140 800500D9
	s_add_i32 m0, m0, 0x3c0                                    // 000000004834: 817CFF7C 000003C0
	v_mul_f32_e32 v97, v21, v97                                // 00000000483C: 0AC2C315
	v_mul_f32_e32 v98, v21, v98                                // 000000004840: 0AC4C515
	v_mul_f32_e32 v99, v21, v99                                // 000000004844: 0AC6C715
	v_mul_f32_e32 v100, v21, v100                              // 000000004848: 0AC8C915
	v_mul_f32_e32 v101, v21, v101                              // 00000000484C: 0ACACB15
	v_mul_f32_e32 v102, v21, v102                              // 000000004850: 0ACCCD15
	v_mul_f32_e32 v103, v21, v103                              // 000000004854: 0ACECF15
	v_mul_f32_e32 v104, v21, v104                              // 000000004858: 0AD0D115
	v_mul_f32_e32 v105, v21, v105                              // 00000000485C: 0AD2D315
	v_mul_f32_e32 v106, v21, v106                              // 000000004860: 0AD4D515
	v_mul_f32_e32 v107, v21, v107                              // 000000004864: 0AD6D715
	v_mul_f32_e32 v108, v21, v108                              // 000000004868: 0AD8D915
	v_add_u32_e32 v34, s73, v34                                // 00000000486C: 68444449
	v_mfma_f32_32x32x64_f8f6f4 v[44:59], a[96:103], a[24:31], v[44:59]// 000000004870: D3AE002C 1CB23160
	ds_read_b64_tr_b8 a[88:89], v5 offset:1024                 // 000000004878: DBC40400 58000005
	ds_read_b64_tr_b8 a[90:91], v6 offset:1024                 // 000000004880: DBC40400 5A000006
	ds_read_b64_tr_b8 a[92:93], v5 offset:19456                // 000000004888: DBC44C00 5C000005
	ds_read_b64_tr_b8 a[94:95], v6 offset:19456                // 000000004890: DBC44C00 5E000006
	ds_read_b64_tr_b8 a[96:97], v7 offset:1024                 // 000000004898: DBC40400 60000007
	ds_read_b64_tr_b8 a[98:99], v8 offset:1024                 // 0000000048A0: DBC40400 62000008
	ds_read_b64_tr_b8 a[100:101], v7 offset:19456              // 0000000048A8: DBC44C00 64000007
	ds_read_b64_tr_b8 a[102:103], v8 offset:19456              // 0000000048B0: DBC44C00 66000008
	v_mul_f32_e32 v109, v21, v109                              // 0000000048B8: 0ADADB15
	v_mul_f32_e32 v110, v21, v110                              // 0000000048BC: 0ADCDD15
	v_mul_f32_e32 v111, v21, v111                              // 0000000048C0: 0ADEDF15
	v_mul_f32_e32 v112, v21, v112                              // 0000000048C4: 0AE0E115
	v_mul_f32_e32 v113, v21, v113                              // 0000000048C8: 0AE2E315
	v_mul_f32_e32 v114, v21, v114                              // 0000000048CC: 0AE4E515
	v_mul_f32_e32 v115, v21, v115                              // 0000000048D0: 0AE6E715
	v_mul_f32_e32 v116, v21, v116                              // 0000000048D4: 0AE8E915
	v_mul_f32_e32 v117, v21, v117                              // 0000000048D8: 0AEAEB15
	v_mul_f32_e32 v118, v21, v118                              // 0000000048DC: 0AECED15
	v_mul_f32_e32 v119, v21, v119                              // 0000000048E0: 0AEEEF15
	v_mul_f32_e32 v120, v21, v120                              // 0000000048E4: 0AF0F115
	v_mfma_f32_32x32x64_f8f6f4 v[44:59], a[104:111], a[32:39], v[44:59]// 0000000048E8: D3AE002C 1CB24168
	buffer_load_dwordx4 v217, s[20:23], 0 offen offset:384 lds // 0000000048F0: E05D1180 800500D9
	s_add_i32 m0, m0, 0x3c0                                    // 0000000048F8: 817CFF7C 000003C0
	v_mul_f32_e32 v121, v21, v121                              // 000000004900: 0AF2F315
	v_mul_f32_e32 v122, v21, v122                              // 000000004904: 0AF4F515
	v_mul_f32_e32 v123, v21, v123                              // 000000004908: 0AF6F715
	v_mul_f32_e32 v124, v21, v124                              // 00000000490C: 0AF8F915
	v_mul_f32_e32 v125, v21, v125                              // 000000004910: 0AFAFB15
	v_mul_f32_e32 v126, v21, v126                              // 000000004914: 0AFCFD15
	v_mul_f32_e32 v127, v21, v127                              // 000000004918: 0AFEFF15
	v_mul_f32_e32 v128, v21, v128                              // 00000000491C: 0B010115
	v_mul_f32_e32 v129, v21, v129                              // 000000004920: 0B030315
	v_mul_f32_e32 v130, v21, v130                              // 000000004924: 0B050515
	v_mul_f32_e32 v131, v21, v131                              // 000000004928: 0B070715
	v_mul_f32_e32 v132, v21, v132                              // 00000000492C: 0B090915
	v_mfma_f32_32x32x64_f8f6f4 v[44:59], a[112:119], a[40:47], v[44:59]// 000000004930: D3AE002C 1CB25170
	s_waitcnt lgkmcnt(0)                                       // 000000004938: BF8CC07F
	ds_read_b64_tr_b8 a[104:105], v5 offset:2048               // 00000000493C: DBC40800 68000005
	ds_read_b64_tr_b8 a[106:107], v6 offset:2048               // 000000004944: DBC40800 6A000006
	ds_read_b64_tr_b8 a[108:109], v5 offset:20480              // 00000000494C: DBC45000 6C000005
	ds_read_b64_tr_b8 a[110:111], v6 offset:20480              // 000000004954: DBC45000 6E000006
	ds_read_b64_tr_b8 a[112:113], v7 offset:2048               // 00000000495C: DBC40800 70000007
	ds_read_b64_tr_b8 a[114:115], v8 offset:2048               // 000000004964: DBC40800 72000008
	ds_read_b64_tr_b8 a[116:117], v7 offset:20480              // 00000000496C: DBC45000 74000007
	ds_read_b64_tr_b8 a[118:119], v8 offset:20480              // 000000004974: DBC45000 76000008
	v_mul_f32_e32 v133, v21, v133                              // 00000000497C: 0B0B0B15
	v_mul_f32_e32 v134, v21, v134                              // 000000004980: 0B0D0D15
	v_mul_f32_e32 v135, v21, v135                              // 000000004984: 0B0F0F15
	v_mul_f32_e32 v136, v21, v136                              // 000000004988: 0B111115
	v_mul_f32_e32 v137, v21, v137                              // 00000000498C: 0B131315
	v_mul_f32_e32 v138, v21, v138                              // 000000004990: 0B151515
	v_mul_f32_e32 v139, v21, v139                              // 000000004994: 0B171715
	v_mfma_f32_32x32x64_f8f6f4 v[44:59], a[120:127], a[48:55], v[44:59]// 000000004998: D3AE002C 1CB26178
	buffer_load_dwordx4 v217, s[20:23], 0 offen offset:448 lds // 0000000049A0: E05D11C0 800500D9
	s_add_i32 m0, m0, 0x3c0                                    // 0000000049A8: 817CFF7C 000003C0
	v_permlane32_swap_b32_e32 v60, v62                         // 0000000049B0: 7E78B53E
	v_permlane32_swap_b32_e32 v61, v63                         // 0000000049B4: 7E7AB53F
	v_swap_b32 v61, v62                                        // 0000000049B8: 7E7AA33E
	v_permlane32_swap_b32_e32 v64, v66                         // 0000000049BC: 7E80B542
	v_permlane32_swap_b32_e32 v65, v67                         // 0000000049C0: 7E82B543
	v_swap_b32 v65, v66                                        // 0000000049C4: 7E82A342
	v_mfma_f32_32x32x64_f8f6f4 v[44:59], a[128:135], a[56:63], v[44:59]// 0000000049C8: D3AE002C 1CB27180
	ds_read_b64_tr_b8 a[120:121], v5 offset:3072               // 0000000049D0: DBC40C00 78000005
	ds_read_b64_tr_b8 a[122:123], v6 offset:3072               // 0000000049D8: DBC40C00 7A000006
	ds_read_b64_tr_b8 a[124:125], v5 offset:21504              // 0000000049E0: DBC45400 7C000005
	ds_read_b64_tr_b8 a[126:127], v6 offset:21504              // 0000000049E8: DBC45400 7E000006
	ds_read_b64_tr_b8 a[128:129], v7 offset:3072               // 0000000049F0: DBC40C00 80000007
	ds_read_b64_tr_b8 a[130:131], v8 offset:3072               // 0000000049F8: DBC40C00 82000008
	ds_read_b64_tr_b8 a[132:133], v7 offset:21504              // 000000004A00: DBC45400 84000007
	ds_read_b64_tr_b8 a[134:135], v8 offset:21504              // 000000004A08: DBC45400 86000008
	v_mov_b32_e32 v36, v21                                     // 000000004A10: 7E480315
	v_mov_b32_e32 v37, v21                                     // 000000004A14: 7E4A0315
	v_pk_mul_f32 v[140:141], v[36:37], v[140:141]              // 000000004A18: D3B1408C 18031924
	v_pk_mul_f32 v[142:143], v[36:37], v[142:143]              // 000000004A20: D3B1408E 18031D24
	v_pk_mul_f32 v[144:145], v[36:37], v[144:145]              // 000000004A28: D3B14090 18032124
	v_pk_mul_f32 v[146:147], v[36:37], v[146:147]              // 000000004A30: D3B14092 18032524
	v_pk_mul_f32 v[148:149], v[36:37], v[148:149]              // 000000004A38: D3B14094 18032924
	v_pk_mul_f32 v[150:151], v[36:37], v[150:151]              // 000000004A40: D3B14096 18032D24
	v_pk_mul_f32 v[152:153], v[36:37], v[152:153]              // 000000004A48: D3B14098 18033124
	v_pk_mul_f32 v[154:155], v[36:37], v[154:155]              // 000000004A50: D3B1409A 18033524
	v_pk_mul_f32 v[156:157], v[36:37], v[156:157]              // 000000004A58: D3B1409C 18033924
	v_pk_mul_f32 v[158:159], v[36:37], v[158:159]              // 000000004A60: D3B1409E 18033D24
	v_pk_mul_f32 v[160:161], v[36:37], v[160:161]              // 000000004A68: D3B140A0 18034124
	v_pk_mul_f32 v[162:163], v[36:37], v[162:163]              // 000000004A70: D3B140A2 18034524
	v_pk_mul_f32 v[164:165], v[36:37], v[164:165]              // 000000004A78: D3B140A4 18034924
	v_pk_mul_f32 v[166:167], v[36:37], v[166:167]              // 000000004A80: D3B140A6 18034D24
	v_pk_mul_f32 v[168:169], v[36:37], v[168:169]              // 000000004A88: D3B140A8 18035124
	v_pk_mul_f32 v[170:171], v[36:37], v[170:171]              // 000000004A90: D3B140AA 18035524
	v_pk_mul_f32 v[172:173], v[36:37], v[172:173]              // 000000004A98: D3B140AC 18035924
	v_pk_mul_f32 v[174:175], v[36:37], v[174:175]              // 000000004AA0: D3B140AE 18035D24
	v_pk_mul_f32 v[176:177], v[36:37], v[176:177]              // 000000004AA8: D3B140B0 18036124
	v_pk_mul_f32 v[178:179], v[36:37], v[178:179]              // 000000004AB0: D3B140B2 18036524
	v_pk_mul_f32 v[180:181], v[36:37], v[180:181]              // 000000004AB8: D3B140B4 18036924
	v_pk_mul_f32 v[182:183], v[36:37], v[182:183]              // 000000004AC0: D3B140B6 18036D24
	v_pk_mul_f32 v[184:185], v[36:37], v[184:185]              // 000000004AC8: D3B140B8 18037124
	v_pk_mul_f32 v[186:187], v[36:37], v[186:187]              // 000000004AD0: D3B140BA 18037524
	v_pk_mul_f32 v[188:189], v[36:37], v[188:189]              // 000000004AD8: D3B140BC 18037924
	v_pk_mul_f32 v[190:191], v[36:37], v[190:191]              // 000000004AE0: D3B140BE 18037D24
	v_pk_mul_f32 v[192:193], v[36:37], v[192:193]              // 000000004AE8: D3B140C0 18038124
	v_pk_mul_f32 v[194:195], v[36:37], v[194:195]              // 000000004AF0: D3B140C2 18038524
	v_pk_mul_f32 v[196:197], v[36:37], v[196:197]              // 000000004AF8: D3B140C4 18038924
	v_pk_mul_f32 v[198:199], v[36:37], v[198:199]              // 000000004B00: D3B140C6 18038D24
	v_pk_mul_f32 v[200:201], v[36:37], v[200:201]              // 000000004B08: D3B140C8 18039124
	v_pk_mul_f32 v[202:203], v[36:37], v[202:203]              // 000000004B10: D3B140CA 18039524
	v_mfma_f32_32x32x64_f8f6f4 v[44:59], a[136:143], a[64:71], v[44:59]// 000000004B18: D3AE002C 1CB28188
	buffer_load_dwordx4 v217, s[20:23], 0 offen offset:512 lds // 000000004B20: E05D1200 800500D9
	s_add_i32 m0, m0, 0x3c0                                    // 000000004B28: 817CFF7C 000003C0
	s_addk_i32 s70, 0x1                                        // 000000004B30: B7460001
	s_cmp_lt_i32 s70, s71                                      // 000000004B34: BF044746
	s_cbranch_scc0 label_2F74                                  // 000000004B38: BF8401CE
	v_mul_u32_u24_e64 v217, v33, s68                           // 000000004B3C: D10800D9 00008921
	v_add_u32_e32 v217, v217, v1                               // 000000004B44: 69B203D9
	s_waitcnt vmcnt(10)                                        // 000000004B48: BF8C0F7A
	s_barrier                                                  // 000000004B4C: BF8A0000
	s_waitcnt lgkmcnt(8)                                       // 000000004B50: BF8CC87F
	v_mfma_f32_32x32x64_f8f6f4 v[76:91], a[72:79], v[60:67], v[76:91]// 000000004B54: D3AE004C 0D327948
	ds_read_b128 a[72:75], v26                                 // 000000004B5C: DBFE0000 4800001A
	ds_read_b128 a[76:79], v27                                 // 000000004B64: DBFE0000 4C00001B
	v_mov_b32_e32 v213, v44                                    // 000000004B6C: 7FAA032C
	v_max3_f32 v213, v44, v45, v213                            // 000000004B70: D1D300D5 07565B2C
	v_max3_f32 v213, v46, v47, v213                            // 000000004B78: D1D300D5 07565F2E
	v_max3_f32 v213, v48, v49, v213                            // 000000004B80: D1D300D5 07566330
	v_max3_f32 v213, v50, v51, v213                            // 000000004B88: D1D300D5 07566732
	v_max3_f32 v213, v52, v53, v213                            // 000000004B90: D1D300D5 07566B34
	v_max3_f32 v213, v54, v55, v213                            // 000000004B98: D1D300D5 07566F36
	v_max3_f32 v213, v56, v57, v213                            // 000000004BA0: D1D300D5 07567338
	v_max3_f32 v213, v58, v59, v213                            // 000000004BA8: D1D300D5 0756773A
	v_mov_b32_e32 v35, v213                                    // 000000004BB0: 7E4603D5
	v_mov_b32_e32 v36, v213                                    // 000000004BB4: 7E4803D5
	s_nop 0                                                    // 000000004BB8: BF800000
	v_mfma_f32_32x32x64_f8f6f4 v[92:107], a[80:87], v[60:67], v[92:107]// 000000004BBC: D3AE005C 0D727950
	v_permlane32_swap_b32_e32 v35, v36                         // 000000004BC4: 7E46B524
	v_max3_f32 v213, v35, v36, v213                            // 000000004BC8: D1D300D5 07564923
	ds_write_b32 v41, v213                                     // 000000004BD0: D81A0000 0000D529
	s_mov_b32 s56, 0x2000                                      // 000000004BD8: BEB800FF 00002000
	s_mul_i32 s57, s7, 0x2400                                  // 000000004BE0: 9239FF07 00002400
	s_add_u32 m0, s56, s57                                     // 000000004BE8: 807C3938
	buffer_load_dwordx4 v217, s[20:23], 0 offen lds            // 000000004BEC: E05D1000 800500D9
	s_add_i32 m0, m0, 0x3c0                                    // 000000004BF4: 817CFF7C 000003C0
	buffer_load_dwordx4 v217, s[20:23], 0 offen offset:64 lds  // 000000004BFC: E05D1040 800500D9
	s_add_i32 m0, m0, 0x3c0                                    // 000000004C04: 817CFF7C 000003C0
	s_waitcnt lgkmcnt(0)                                       // 000000004C0C: BF8CC07F
	s_barrier                                                  // 000000004C10: BF8A0000
	v_mfma_f32_32x32x64_f8f6f4 v[108:123], a[88:95], v[60:67], v[108:123]// 000000004C14: D3AE006C 0DB27958
	ds_read_b32 v35, v40                                       // 000000004C1C: D86C0000 23000028
	ds_read_b32 v36, v40 offset:256                            // 000000004C24: D86C0100 24000028
	s_waitcnt lgkmcnt(0)                                       // 000000004C2C: BF8CC07F
	v_max3_f32 v213, v35, v36, v213                            // 000000004C30: D1D300D5 07564923
	v_mov_b32_e32 v35, 0xff800000                              // 000000004C38: 7E4602FF FF800000
	v_cmp_eq_u32_e64 s[36:37], v35, v2                         // 000000004C40: D0CA0024 00020523
	v_max_f32_e32 v216, v213, v2                               // 000000004C48: 17B005D5
	v_sub_f32_e32 v21, v2, v216                                // 000000004C4C: 042BB102
	v_cndmask_b32_e64 v21, v21, 0, s[36:37]                    // 000000004C50: D1000015 00910115
	v_mfma_f32_32x32x64_f8f6f4 v[124:139], a[96:103], v[60:67], v[124:139]// 000000004C58: D3AE007C 0DF27960
	buffer_load_dwordx4 v217, s[20:23], 0 offen offset:128 lds // 000000004C60: E05D1080 800500D9
	s_add_i32 m0, m0, 0x3c0                                    // 000000004C68: 817CFF7C 000003C0
	v_mov_b32_e32 v2, v216                                     // 000000004C70: 7E0403D8
	v_mul_f32_e32 v212, s5, v216                               // 000000004C74: 0BA9B005
	v_mul_f32_e32 v21, s5, v21                                 // 000000004C78: 0A2A2A05
	v_exp_f32_e32 v21, v21                                     // 000000004C7C: 7E2A4115
	v_fma_f32 v44, v44, s5, -v212                              // 000000004C80: D1CB002C 87500B2C
	v_fma_f32 v45, v45, s5, -v212                              // 000000004C88: D1CB002D 87500B2D
	v_fma_f32 v46, v46, s5, -v212                              // 000000004C90: D1CB002E 87500B2E
	v_fma_f32 v47, v47, s5, -v212                              // 000000004C98: D1CB002F 87500B2F
	v_fma_f32 v48, v48, s5, -v212                              // 000000004CA0: D1CB0030 87500B30
	v_fma_f32 v49, v49, s5, -v212                              // 000000004CA8: D1CB0031 87500B31
	v_fma_f32 v50, v50, s5, -v212                              // 000000004CB0: D1CB0032 87500B32
	v_fma_f32 v51, v51, s5, -v212                              // 000000004CB8: D1CB0033 87500B33
	v_fma_f32 v52, v52, s5, -v212                              // 000000004CC0: D1CB0034 87500B34
	v_mfma_f32_32x32x64_f8f6f4 v[140:155], a[104:111], v[60:67], v[140:155]// 000000004CC8: D3AE008C 0E327968
	ds_read_b128 a[80:83], v26 offset:1024                     // 000000004CD0: DBFE0400 5000001A
	ds_read_b128 a[84:87], v27 offset:1024                     // 000000004CD8: DBFE0400 5400001B
	ds_read_b128 a[88:91], v26 offset:2048                     // 000000004CE0: DBFE0800 5800001A
	ds_read_b128 a[92:95], v27 offset:2048                     // 000000004CE8: DBFE0800 5C00001B
	ds_read_b128 a[96:99], v26 offset:3072                     // 000000004CF0: DBFE0C00 6000001A
	ds_read_b128 a[100:103], v27 offset:3072                   // 000000004CF8: DBFE0C00 6400001B
	v_fma_f32 v53, v53, s5, -v212                              // 000000004D00: D1CB0035 87500B35
	v_fma_f32 v54, v54, s5, -v212                              // 000000004D08: D1CB0036 87500B36
	v_fma_f32 v55, v55, s5, -v212                              // 000000004D10: D1CB0037 87500B37
	v_fma_f32 v56, v56, s5, -v212                              // 000000004D18: D1CB0038 87500B38
	v_fma_f32 v57, v57, s5, -v212                              // 000000004D20: D1CB0039 87500B39
	v_fma_f32 v58, v58, s5, -v212                              // 000000004D28: D1CB003A 87500B3A
	v_fma_f32 v59, v59, s5, -v212                              // 000000004D30: D1CB003B 87500B3B
	v_exp_f32_e32 v44, v44                                     // 000000004D38: 7E58412C
	v_exp_f32_e32 v45, v45                                     // 000000004D3C: 7E5A412D
	v_mfma_f32_32x32x64_f8f6f4 v[156:171], a[112:119], v[60:67], v[156:171]// 000000004D40: D3AE009C 0E727970
	buffer_load_dwordx4 v217, s[20:23], 0 offen offset:192 lds // 000000004D48: E05D10C0 800500D9
	s_add_i32 m0, m0, 0x3c0                                    // 000000004D50: 817CFF7C 000003C0
	v_exp_f32_e32 v46, v46                                     // 000000004D58: 7E5C412E
	v_exp_f32_e32 v47, v47                                     // 000000004D5C: 7E5E412F
	v_exp_f32_e32 v48, v48                                     // 000000004D60: 7E604130
	v_exp_f32_e32 v49, v49                                     // 000000004D64: 7E624131
	v_exp_f32_e32 v50, v50                                     // 000000004D68: 7E644132
	v_exp_f32_e32 v51, v51                                     // 000000004D6C: 7E664133
	v_exp_f32_e32 v52, v52                                     // 000000004D70: 7E684134
	v_mfma_f32_32x32x64_f8f6f4 v[172:187], a[120:127], v[60:67], v[172:187]// 000000004D74: D3AE00AC 0EB27978
	ds_read_b128 a[104:107], v26 offset:4096                   // 000000004D7C: DBFE1000 6800001A
	ds_read_b128 a[108:111], v27 offset:4096                   // 000000004D84: DBFE1000 6C00001B
	ds_read_b128 a[112:115], v26 offset:5120                   // 000000004D8C: DBFE1400 7000001A
	ds_read_b128 a[116:119], v27 offset:5120                   // 000000004D94: DBFE1400 7400001B
	ds_read_b128 a[120:123], v26 offset:6144                   // 000000004D9C: DBFE1800 7800001A
	ds_read_b128 a[124:127], v27 offset:6144                   // 000000004DA4: DBFE1800 7C00001B
	v_exp_f32_e32 v53, v53                                     // 000000004DAC: 7E6A4135
	v_exp_f32_e32 v54, v54                                     // 000000004DB0: 7E6C4136
	v_exp_f32_e32 v55, v55                                     // 000000004DB4: 7E6E4137
	v_exp_f32_e32 v56, v56                                     // 000000004DB8: 7E704138
	v_exp_f32_e32 v57, v57                                     // 000000004DBC: 7E724139
	v_mfma_f32_32x32x64_f8f6f4 v[188:203], a[128:135], v[60:67], v[188:203]// 000000004DC0: D3AE00BC 0EF27980
	ds_read_b128 a[128:131], v26 offset:7168                   // 000000004DC8: DBFE1C00 8000001A
	ds_read_b128 a[132:135], v27 offset:7168                   // 000000004DD0: DBFE1C00 8400001B
	ds_read_b128 a[136:139], v26 offset:8192                   // 000000004DD8: DBFE2000 8800001A
	ds_read_b128 a[140:143], v27 offset:8192                   // 000000004DE0: DBFE2000 8C00001B
	v_exp_f32_e32 v58, v58                                     // 000000004DE8: 7E74413A
	v_exp_f32_e32 v59, v59                                     // 000000004DEC: 7E76413B
	v_mul_f32_e32 v4, v21, v4                                  // 000000004DF0: 0A080915
	v_mov_b32_e32 v35, v44                                     // 000000004DF4: 7E46032C
	v_add_f32_e32 v35, v45, v35                                // 000000004DF8: 0246472D
	v_add_f32_e32 v35, v46, v35                                // 000000004DFC: 0246472E
	v_add_f32_e32 v35, v47, v35                                // 000000004E00: 0246472F
	v_add_f32_e32 v35, v48, v35                                // 000000004E04: 02464730
	v_add_f32_e32 v35, v49, v35                                // 000000004E08: 02464731
	v_add_f32_e32 v35, v50, v35                                // 000000004E0C: 02464732
	v_add_f32_e32 v35, v51, v35                                // 000000004E10: 02464733
	v_add_f32_e32 v35, v52, v35                                // 000000004E14: 02464734
	v_add_f32_e32 v35, v53, v35                                // 000000004E18: 02464735
	v_add_f32_e32 v35, v54, v35                                // 000000004E1C: 02464736
	v_add_f32_e32 v35, v55, v35                                // 000000004E20: 02464737
	v_add_f32_e32 v35, v56, v35                                // 000000004E24: 02464738
	v_add_f32_e32 v35, v57, v35                                // 000000004E28: 02464739
	v_add_f32_e32 v35, v58, v35                                // 000000004E2C: 0246473A
	v_add_f32_e32 v35, v59, v35                                // 000000004E30: 0246473B
	v_add_f32_e32 v4, v35, v4                                  // 000000004E34: 02080923
	v_cvt_pk_fp8_f32 v44, v44, v45                             // 000000004E38: D2A2002C 00025B2C
	v_cvt_pk_fp8_f32 v44, v46, v47 op_sel:[0,0,1]              // 000000004E40: D2A2402C 00025F2E
	v_cvt_pk_fp8_f32 v45, v48, v49                             // 000000004E48: D2A2002D 00026330
	v_cvt_pk_fp8_f32 v45, v50, v51 op_sel:[0,0,1]              // 000000004E50: D2A2402D 00026732
	v_cvt_pk_fp8_f32 v46, v52, v53                             // 000000004E58: D2A2002E 00026B34
	v_cvt_pk_fp8_f32 v46, v54, v55 op_sel:[0,0,1]              // 000000004E60: D2A2402E 00026F36
	v_cvt_pk_fp8_f32 v47, v56, v57                             // 000000004E68: D2A2002F 00027338
	v_cvt_pk_fp8_f32 v47, v58, v59 op_sel:[0,0,1]              // 000000004E70: D2A2402F 0002773A
	s_waitcnt lgkmcnt(8)                                       // 000000004E78: BF8CC87F
	v_mfma_f32_32x32x64_f8f6f4 v[60:75], a[72:79], a[0:7], 0   // 000000004E7C: D3AE003C 1A020148
	ds_write_b128 v43, v[44:47] offset:1024                    // 000000004E84: D9BE0400 00002C2B
	buffer_load_dword v31, v34, s[24:27], 0 offen              // 000000004E8C: E0501000 80061F22
	buffer_load_dwordx4 v217, s[20:23], 0 offen offset:256 lds // 000000004E94: E05D1100 800500D9
	s_add_i32 m0, m0, 0x3c0                                    // 000000004E9C: 817CFF7C 000003C0
	v_mul_f32_e32 v76, v21, v76                                // 000000004EA4: 0A989915
	v_mul_f32_e32 v77, v21, v77                                // 000000004EA8: 0A9A9B15
	v_mul_f32_e32 v78, v21, v78                                // 000000004EAC: 0A9C9D15
	v_mul_f32_e32 v79, v21, v79                                // 000000004EB0: 0A9E9F15
	v_mul_f32_e32 v80, v21, v80                                // 000000004EB4: 0AA0A115
	v_mul_f32_e32 v81, v21, v81                                // 000000004EB8: 0AA2A315
	v_mul_f32_e32 v82, v21, v82                                // 000000004EBC: 0AA4A515
	v_mul_f32_e32 v83, v21, v83                                // 000000004EC0: 0AA6A715
	v_mul_f32_e32 v84, v21, v84                                // 000000004EC4: 0AA8A915
	v_mfma_f32_32x32x64_f8f6f4 v[60:75], a[80:87], a[8:15], v[60:75]// 000000004EC8: D3AE003C 1CF21150
	ds_read_b64_tr_b8 a[72:73], v9                             // 000000004ED0: DBC40000 48000009
	ds_read_b64_tr_b8 a[74:75], v10                            // 000000004ED8: DBC40000 4A00000A
	ds_read_b64_tr_b8 a[76:77], v9 offset:18432                // 000000004EE0: DBC44800 4C000009
	ds_read_b64_tr_b8 a[78:79], v10 offset:18432               // 000000004EE8: DBC44800 4E00000A
	ds_read_b64_tr_b8 a[80:81], v11                            // 000000004EF0: DBC40000 5000000B
	ds_read_b64_tr_b8 a[82:83], v12                            // 000000004EF8: DBC40000 5200000C
	ds_read_b64_tr_b8 a[84:85], v11 offset:18432               // 000000004F00: DBC44800 5400000B
	ds_read_b64_tr_b8 a[86:87], v12 offset:18432               // 000000004F08: DBC44800 5600000C
	v_mul_f32_e32 v85, v21, v85                                // 000000004F10: 0AAAAB15
	v_mul_f32_e32 v86, v21, v86                                // 000000004F14: 0AACAD15
	v_mul_f32_e32 v87, v21, v87                                // 000000004F18: 0AAEAF15
	v_mul_f32_e32 v88, v21, v88                                // 000000004F1C: 0AB0B115
	v_mul_f32_e32 v89, v21, v89                                // 000000004F20: 0AB2B315
	v_mul_f32_e32 v90, v21, v90                                // 000000004F24: 0AB4B515
	v_mul_f32_e32 v91, v21, v91                                // 000000004F28: 0AB6B715
	v_mul_f32_e32 v92, v21, v92                                // 000000004F2C: 0AB8B915
	v_mul_f32_e32 v93, v21, v93                                // 000000004F30: 0ABABB15
	v_mul_f32_e32 v94, v21, v94                                // 000000004F34: 0ABCBD15
	v_mul_f32_e32 v95, v21, v95                                // 000000004F38: 0ABEBF15
	v_mul_f32_e32 v96, v21, v96                                // 000000004F3C: 0AC0C115
	s_waitcnt lgkmcnt(0)                                       // 000000004F40: BF8CC07F
	s_barrier                                                  // 000000004F44: BF8A0000
	v_mfma_f32_32x32x64_f8f6f4 v[60:75], a[88:95], a[16:23], v[60:75]// 000000004F48: D3AE003C 1CF22158
	ds_read_b128 v[44:47], v42 offset:1024                     // 000000004F50: D9FE0400 2C00002A
	ds_read_b128 v[48:51], v42 offset:2048                     // 000000004F58: D9FE0800 3000002A
	buffer_load_dwordx4 v217, s[20:23], 0 offen offset:320 lds // 000000004F60: E05D1140 800500D9
	s_add_i32 m0, m0, 0x3c0                                    // 000000004F68: 817CFF7C 000003C0
	v_mul_f32_e32 v97, v21, v97                                // 000000004F70: 0AC2C315
	v_mul_f32_e32 v98, v21, v98                                // 000000004F74: 0AC4C515
	v_mul_f32_e32 v99, v21, v99                                // 000000004F78: 0AC6C715
	v_mul_f32_e32 v100, v21, v100                              // 000000004F7C: 0AC8C915
	v_mul_f32_e32 v101, v21, v101                              // 000000004F80: 0ACACB15
	v_mul_f32_e32 v102, v21, v102                              // 000000004F84: 0ACCCD15
	v_mul_f32_e32 v103, v21, v103                              // 000000004F88: 0ACECF15
	v_mul_f32_e32 v104, v21, v104                              // 000000004F8C: 0AD0D115
	v_mul_f32_e32 v105, v21, v105                              // 000000004F90: 0AD2D315
	v_mul_f32_e32 v106, v21, v106                              // 000000004F94: 0AD4D515
	v_mul_f32_e32 v107, v21, v107                              // 000000004F98: 0AD6D715
	v_mul_f32_e32 v108, v21, v108                              // 000000004F9C: 0AD8D915
	v_add_u32_e32 v34, s73, v34                                // 000000004FA0: 68444449
	v_mfma_f32_32x32x64_f8f6f4 v[60:75], a[96:103], a[24:31], v[60:75]// 000000004FA4: D3AE003C 1CF23160
	ds_read_b64_tr_b8 a[88:89], v9 offset:1024                 // 000000004FAC: DBC40400 58000009
	ds_read_b64_tr_b8 a[90:91], v10 offset:1024                // 000000004FB4: DBC40400 5A00000A
	ds_read_b64_tr_b8 a[92:93], v9 offset:19456                // 000000004FBC: DBC44C00 5C000009
	ds_read_b64_tr_b8 a[94:95], v10 offset:19456               // 000000004FC4: DBC44C00 5E00000A
	ds_read_b64_tr_b8 a[96:97], v11 offset:1024                // 000000004FCC: DBC40400 6000000B
	ds_read_b64_tr_b8 a[98:99], v12 offset:1024                // 000000004FD4: DBC40400 6200000C
	ds_read_b64_tr_b8 a[100:101], v11 offset:19456             // 000000004FDC: DBC44C00 6400000B
	ds_read_b64_tr_b8 a[102:103], v12 offset:19456             // 000000004FE4: DBC44C00 6600000C
	v_mul_f32_e32 v109, v21, v109                              // 000000004FEC: 0ADADB15
	v_mul_f32_e32 v110, v21, v110                              // 000000004FF0: 0ADCDD15
	v_mul_f32_e32 v111, v21, v111                              // 000000004FF4: 0ADEDF15
	v_mul_f32_e32 v112, v21, v112                              // 000000004FF8: 0AE0E115
	v_mul_f32_e32 v113, v21, v113                              // 000000004FFC: 0AE2E315
	v_mul_f32_e32 v114, v21, v114                              // 000000005000: 0AE4E515
	v_mul_f32_e32 v115, v21, v115                              // 000000005004: 0AE6E715
	v_mul_f32_e32 v116, v21, v116                              // 000000005008: 0AE8E915
	v_mul_f32_e32 v117, v21, v117                              // 00000000500C: 0AEAEB15
	v_mul_f32_e32 v118, v21, v118                              // 000000005010: 0AECED15
	v_mul_f32_e32 v119, v21, v119                              // 000000005014: 0AEEEF15
	v_mul_f32_e32 v120, v21, v120                              // 000000005018: 0AF0F115
	v_mfma_f32_32x32x64_f8f6f4 v[60:75], a[104:111], a[32:39], v[60:75]// 00000000501C: D3AE003C 1CF24168
	buffer_load_dwordx4 v217, s[20:23], 0 offen offset:384 lds // 000000005024: E05D1180 800500D9
	s_add_i32 m0, m0, 0x3c0                                    // 00000000502C: 817CFF7C 000003C0
	v_mul_f32_e32 v121, v21, v121                              // 000000005034: 0AF2F315
	v_mul_f32_e32 v122, v21, v122                              // 000000005038: 0AF4F515
	v_mul_f32_e32 v123, v21, v123                              // 00000000503C: 0AF6F715
	v_mul_f32_e32 v124, v21, v124                              // 000000005040: 0AF8F915
	v_mul_f32_e32 v125, v21, v125                              // 000000005044: 0AFAFB15
	v_mul_f32_e32 v126, v21, v126                              // 000000005048: 0AFCFD15
	v_mul_f32_e32 v127, v21, v127                              // 00000000504C: 0AFEFF15
	v_mul_f32_e32 v128, v21, v128                              // 000000005050: 0B010115
	v_mul_f32_e32 v129, v21, v129                              // 000000005054: 0B030315
	v_mul_f32_e32 v130, v21, v130                              // 000000005058: 0B050515
	v_mul_f32_e32 v131, v21, v131                              // 00000000505C: 0B070715
	v_mul_f32_e32 v132, v21, v132                              // 000000005060: 0B090915
	v_mfma_f32_32x32x64_f8f6f4 v[60:75], a[112:119], a[40:47], v[60:75]// 000000005064: D3AE003C 1CF25170
	s_waitcnt lgkmcnt(0)                                       // 00000000506C: BF8CC07F
	ds_read_b64_tr_b8 a[104:105], v9 offset:2048               // 000000005070: DBC40800 68000009
	ds_read_b64_tr_b8 a[106:107], v10 offset:2048              // 000000005078: DBC40800 6A00000A
	ds_read_b64_tr_b8 a[108:109], v9 offset:20480              // 000000005080: DBC45000 6C000009
	ds_read_b64_tr_b8 a[110:111], v10 offset:20480             // 000000005088: DBC45000 6E00000A
	ds_read_b64_tr_b8 a[112:113], v11 offset:2048              // 000000005090: DBC40800 7000000B
	ds_read_b64_tr_b8 a[114:115], v12 offset:2048              // 000000005098: DBC40800 7200000C
	ds_read_b64_tr_b8 a[116:117], v11 offset:20480             // 0000000050A0: DBC45000 7400000B
	ds_read_b64_tr_b8 a[118:119], v12 offset:20480             // 0000000050A8: DBC45000 7600000C
	v_mul_f32_e32 v133, v21, v133                              // 0000000050B0: 0B0B0B15
	v_mul_f32_e32 v134, v21, v134                              // 0000000050B4: 0B0D0D15
	v_mul_f32_e32 v135, v21, v135                              // 0000000050B8: 0B0F0F15
	v_mul_f32_e32 v136, v21, v136                              // 0000000050BC: 0B111115
	v_mul_f32_e32 v137, v21, v137                              // 0000000050C0: 0B131315
	v_mul_f32_e32 v138, v21, v138                              // 0000000050C4: 0B151515
	v_mul_f32_e32 v139, v21, v139                              // 0000000050C8: 0B171715
	v_mfma_f32_32x32x64_f8f6f4 v[60:75], a[120:127], a[48:55], v[60:75]// 0000000050CC: D3AE003C 1CF26178
	buffer_load_dwordx4 v217, s[20:23], 0 offen offset:448 lds // 0000000050D4: E05D11C0 800500D9
	s_add_i32 m0, m0, 0x3c0                                    // 0000000050DC: 817CFF7C 000003C0
	v_permlane32_swap_b32_e32 v44, v46                         // 0000000050E4: 7E58B52E
	v_permlane32_swap_b32_e32 v45, v47                         // 0000000050E8: 7E5AB52F
	v_swap_b32 v45, v46                                        // 0000000050EC: 7E5AA32E
	v_permlane32_swap_b32_e32 v48, v50                         // 0000000050F0: 7E60B532
	v_permlane32_swap_b32_e32 v49, v51                         // 0000000050F4: 7E62B533
	v_swap_b32 v49, v50                                        // 0000000050F8: 7E62A332
	v_mfma_f32_32x32x64_f8f6f4 v[60:75], a[128:135], a[56:63], v[60:75]// 0000000050FC: D3AE003C 1CF27180
	ds_read_b64_tr_b8 a[120:121], v9 offset:3072               // 000000005104: DBC40C00 78000009
	ds_read_b64_tr_b8 a[122:123], v10 offset:3072              // 00000000510C: DBC40C00 7A00000A
	ds_read_b64_tr_b8 a[124:125], v9 offset:21504              // 000000005114: DBC45400 7C000009
	ds_read_b64_tr_b8 a[126:127], v10 offset:21504             // 00000000511C: DBC45400 7E00000A
	ds_read_b64_tr_b8 a[128:129], v11 offset:3072              // 000000005124: DBC40C00 8000000B
	ds_read_b64_tr_b8 a[130:131], v12 offset:3072              // 00000000512C: DBC40C00 8200000C
	ds_read_b64_tr_b8 a[132:133], v11 offset:21504             // 000000005134: DBC45400 8400000B
	ds_read_b64_tr_b8 a[134:135], v12 offset:21504             // 00000000513C: DBC45400 8600000C
	v_mov_b32_e32 v36, v21                                     // 000000005144: 7E480315
	v_mov_b32_e32 v37, v21                                     // 000000005148: 7E4A0315
	v_pk_mul_f32 v[140:141], v[36:37], v[140:141]              // 00000000514C: D3B1408C 18031924
	v_pk_mul_f32 v[142:143], v[36:37], v[142:143]              // 000000005154: D3B1408E 18031D24
	v_pk_mul_f32 v[144:145], v[36:37], v[144:145]              // 00000000515C: D3B14090 18032124
	v_pk_mul_f32 v[146:147], v[36:37], v[146:147]              // 000000005164: D3B14092 18032524
	v_pk_mul_f32 v[148:149], v[36:37], v[148:149]              // 00000000516C: D3B14094 18032924
	v_pk_mul_f32 v[150:151], v[36:37], v[150:151]              // 000000005174: D3B14096 18032D24
	v_pk_mul_f32 v[152:153], v[36:37], v[152:153]              // 00000000517C: D3B14098 18033124
	v_pk_mul_f32 v[154:155], v[36:37], v[154:155]              // 000000005184: D3B1409A 18033524
	v_pk_mul_f32 v[156:157], v[36:37], v[156:157]              // 00000000518C: D3B1409C 18033924
	v_pk_mul_f32 v[158:159], v[36:37], v[158:159]              // 000000005194: D3B1409E 18033D24
	v_pk_mul_f32 v[160:161], v[36:37], v[160:161]              // 00000000519C: D3B140A0 18034124
	v_pk_mul_f32 v[162:163], v[36:37], v[162:163]              // 0000000051A4: D3B140A2 18034524
	v_pk_mul_f32 v[164:165], v[36:37], v[164:165]              // 0000000051AC: D3B140A4 18034924
	v_pk_mul_f32 v[166:167], v[36:37], v[166:167]              // 0000000051B4: D3B140A6 18034D24
	v_pk_mul_f32 v[168:169], v[36:37], v[168:169]              // 0000000051BC: D3B140A8 18035124
	v_pk_mul_f32 v[170:171], v[36:37], v[170:171]              // 0000000051C4: D3B140AA 18035524
	v_pk_mul_f32 v[172:173], v[36:37], v[172:173]              // 0000000051CC: D3B140AC 18035924
	v_pk_mul_f32 v[174:175], v[36:37], v[174:175]              // 0000000051D4: D3B140AE 18035D24
	v_pk_mul_f32 v[176:177], v[36:37], v[176:177]              // 0000000051DC: D3B140B0 18036124
	v_pk_mul_f32 v[178:179], v[36:37], v[178:179]              // 0000000051E4: D3B140B2 18036524
	v_pk_mul_f32 v[180:181], v[36:37], v[180:181]              // 0000000051EC: D3B140B4 18036924
	v_pk_mul_f32 v[182:183], v[36:37], v[182:183]              // 0000000051F4: D3B140B6 18036D24
	v_pk_mul_f32 v[184:185], v[36:37], v[184:185]              // 0000000051FC: D3B140B8 18037124
	v_pk_mul_f32 v[186:187], v[36:37], v[186:187]              // 000000005204: D3B140BA 18037524
	v_pk_mul_f32 v[188:189], v[36:37], v[188:189]              // 00000000520C: D3B140BC 18037924
	v_pk_mul_f32 v[190:191], v[36:37], v[190:191]              // 000000005214: D3B140BE 18037D24
	v_pk_mul_f32 v[192:193], v[36:37], v[192:193]              // 00000000521C: D3B140C0 18038124
	v_pk_mul_f32 v[194:195], v[36:37], v[194:195]              // 000000005224: D3B140C2 18038524
	v_pk_mul_f32 v[196:197], v[36:37], v[196:197]              // 00000000522C: D3B140C4 18038924
	v_pk_mul_f32 v[198:199], v[36:37], v[198:199]              // 000000005234: D3B140C6 18038D24
	v_pk_mul_f32 v[200:201], v[36:37], v[200:201]              // 00000000523C: D3B140C8 18039124
	v_pk_mul_f32 v[202:203], v[36:37], v[202:203]              // 000000005244: D3B140CA 18039524
	v_mfma_f32_32x32x64_f8f6f4 v[60:75], a[136:143], a[64:71], v[60:75]// 00000000524C: D3AE003C 1CF28188
	buffer_load_dwordx4 v217, s[20:23], 0 offen offset:512 lds // 000000005254: E05D1200 800500D9
	s_add_i32 m0, m0, 0x3c0                                    // 00000000525C: 817CFF7C 000003C0
	s_addk_i32 s70, 0x1                                        // 000000005264: B7460001
	s_cmp_lt_i32 s70, s71                                      // 000000005268: BF044746
	s_cbranch_scc0 label_2F74                                  // 00000000526C: BF840001
	s_branch label_12A0                                        // 000000005270: BF82F8CB

0000000000005274 <label_2F74>:
	s_nop 0                                                    // 000000005274: BF800000
	s_nop 0                                                    // 000000005278: BF800000
	s_branch label_4E2C                                        // 00000000527C: BF8207AB

0000000000005280 <label_2F80>:
	v_mul_u32_u24_e64 v217, v30, s68                           // 000000005280: D10800D9 0000891E
	v_add_u32_e32 v217, v217, v1                               // 000000005288: 69B203D9
	s_waitcnt vmcnt(10)                                        // 00000000528C: BF8C0F7A
	s_barrier                                                  // 000000005290: BF8A0000
	s_waitcnt lgkmcnt(8)                                       // 000000005294: BF8CC87F
	v_mfma_f32_32x32x64_f8f6f4 v[76:91], a[72:79], v[44:51], v[76:91]// 000000005298: D3AE004C 0D325948
	v_mov_b32_e32 v213, v60                                    // 0000000052A0: 7FAA033C
	v_max3_f32 v213, v60, v61, v213                            // 0000000052A4: D1D300D5 07567B3C
	v_max3_f32 v213, v62, v63, v213                            // 0000000052AC: D1D300D5 07567F3E
	v_max3_f32 v213, v64, v65, v213                            // 0000000052B4: D1D300D5 07568340
	v_max3_f32 v213, v66, v67, v213                            // 0000000052BC: D1D300D5 07568742
	v_max3_f32 v213, v68, v69, v213                            // 0000000052C4: D1D300D5 07568B44
	v_max3_f32 v213, v70, v71, v213                            // 0000000052CC: D1D300D5 07568F46
	v_max3_f32 v213, v72, v73, v213                            // 0000000052D4: D1D300D5 07569348
	v_max3_f32 v213, v74, v75, v213                            // 0000000052DC: D1D300D5 0756974A
	v_mov_b32_e32 v35, v213                                    // 0000000052E4: 7E4603D5
	v_mov_b32_e32 v36, v213                                    // 0000000052E8: 7E4803D5
	s_nop 0                                                    // 0000000052EC: BF800000
	ds_read_b128 a[72:75], v28                                 // 0000000052F0: DBFE0000 4800001C
	ds_read_b128 a[76:79], v29                                 // 0000000052F8: DBFE0000 4C00001D
	v_mfma_f32_32x32x64_f8f6f4 v[92:107], a[80:87], v[44:51], v[92:107]// 000000005300: D3AE005C 0D725950
	v_permlane32_swap_b32_e32 v35, v36                         // 000000005308: 7E46B524
	v_max3_f32 v213, v35, v36, v213                            // 00000000530C: D1D300D5 07564923
	ds_write_b32 v41, v213                                     // 000000005314: D81A0000 0000D529
	s_mov_b32 s56, 0xb000                                      // 00000000531C: BEB800FF 0000B000
	s_mul_i32 s57, s7, 0x2400                                  // 000000005324: 9239FF07 00002400
	s_add_u32 m0, s56, s57                                     // 00000000532C: 807C3938
	buffer_load_dwordx4 v217, s[20:23], 0 offen lds            // 000000005330: E05D1000 800500D9
	s_add_i32 m0, m0, 0x3c0                                    // 000000005338: 817CFF7C 000003C0
	buffer_load_dwordx4 v217, s[20:23], 0 offen offset:64 lds  // 000000005340: E05D1040 800500D9
	s_add_i32 m0, m0, 0x3c0                                    // 000000005348: 817CFF7C 000003C0
	s_waitcnt lgkmcnt(0)                                       // 000000005350: BF8CC07F
	s_barrier                                                  // 000000005354: BF8A0000
	v_mfma_f32_32x32x64_f8f6f4 v[108:123], a[88:95], v[44:51], v[108:123]// 000000005358: D3AE006C 0DB25958
	ds_read_b32 v35, v40                                       // 000000005360: D86C0000 23000028
	ds_read_b32 v36, v40 offset:256                            // 000000005368: D86C0100 24000028
	s_waitcnt lgkmcnt(0)                                       // 000000005370: BF8CC07F
	v_max3_f32 v213, v35, v36, v213                            // 000000005374: D1D300D5 07564923
	v_mov_b32_e32 v35, 0xff800000                              // 00000000537C: 7E4602FF FF800000
	v_cmp_eq_u32_e64 s[36:37], v35, v2                         // 000000005384: D0CA0024 00020523
	v_max_f32_e32 v216, v213, v2                               // 00000000538C: 17B005D5
	v_sub_f32_e32 v21, v2, v216                                // 000000005390: 042BB102
	v_cndmask_b32_e64 v21, v21, 0, s[36:37]                    // 000000005394: D1000015 00910115
	v_mfma_f32_32x32x64_f8f6f4 v[124:139], a[96:103], v[44:51], v[124:139]// 00000000539C: D3AE007C 0DF25960
	ds_read_b128 a[80:83], v28 offset:1024                     // 0000000053A4: DBFE0400 5000001C
	ds_read_b128 a[84:87], v29 offset:1024                     // 0000000053AC: DBFE0400 5400001D
	ds_read_b128 a[88:91], v28 offset:2048                     // 0000000053B4: DBFE0800 5800001C
	ds_read_b128 a[92:95], v29 offset:2048                     // 0000000053BC: DBFE0800 5C00001D
	ds_read_b128 a[96:99], v28 offset:3072                     // 0000000053C4: DBFE0C00 6000001C
	ds_read_b128 a[100:103], v29 offset:3072                   // 0000000053CC: DBFE0C00 6400001D
	v_mov_b32_e32 v2, v216                                     // 0000000053D4: 7E0403D8
	v_mul_f32_e32 v212, s5, v216                               // 0000000053D8: 0BA9B005
	v_mul_f32_e32 v21, s5, v21                                 // 0000000053DC: 0A2A2A05
	v_exp_f32_e32 v21, v21                                     // 0000000053E0: 7E2A4115
	v_fma_f32 v60, v60, s5, -v212                              // 0000000053E4: D1CB003C 87500B3C
	v_fma_f32 v61, v61, s5, -v212                              // 0000000053EC: D1CB003D 87500B3D
	v_fma_f32 v62, v62, s5, -v212                              // 0000000053F4: D1CB003E 87500B3E
	v_fma_f32 v63, v63, s5, -v212                              // 0000000053FC: D1CB003F 87500B3F
	v_fma_f32 v64, v64, s5, -v212                              // 000000005404: D1CB0040 87500B40
	v_mfma_f32_32x32x64_f8f6f4 v[140:155], a[104:111], v[44:51], v[140:155]// 00000000540C: D3AE008C 0E325968
	buffer_load_dwordx4 v217, s[20:23], 0 offen offset:128 lds // 000000005414: E05D1080 800500D9
	s_add_i32 m0, m0, 0x3c0                                    // 00000000541C: 817CFF7C 000003C0
	v_fma_f32 v65, v65, s5, -v212                              // 000000005424: D1CB0041 87500B41
	v_fma_f32 v66, v66, s5, -v212                              // 00000000542C: D1CB0042 87500B42
	v_fma_f32 v67, v67, s5, -v212                              // 000000005434: D1CB0043 87500B43
	v_fma_f32 v68, v68, s5, -v212                              // 00000000543C: D1CB0044 87500B44
	v_fma_f32 v69, v69, s5, -v212                              // 000000005444: D1CB0045 87500B45
	v_fma_f32 v70, v70, s5, -v212                              // 00000000544C: D1CB0046 87500B46
	v_fma_f32 v71, v71, s5, -v212                              // 000000005454: D1CB0047 87500B47
	v_fma_f32 v72, v72, s5, -v212                              // 00000000545C: D1CB0048 87500B48
	v_fma_f32 v73, v73, s5, -v212                              // 000000005464: D1CB0049 87500B49
	v_fma_f32 v74, v74, s5, -v212                              // 00000000546C: D1CB004A 87500B4A
	v_fma_f32 v75, v75, s5, -v212                              // 000000005474: D1CB004B 87500B4B
	v_exp_f32_e32 v60, v60                                     // 00000000547C: 7E78413C
	v_exp_f32_e32 v61, v61                                     // 000000005480: 7E7A413D
	v_mfma_f32_32x32x64_f8f6f4 v[156:171], a[112:119], v[44:51], v[156:171]// 000000005484: D3AE009C 0E725970
	ds_read_b128 a[104:107], v28 offset:4096                   // 00000000548C: DBFE1000 6800001C
	ds_read_b128 a[108:111], v29 offset:4096                   // 000000005494: DBFE1000 6C00001D
	ds_read_b128 a[112:115], v28 offset:5120                   // 00000000549C: DBFE1400 7000001C
	ds_read_b128 a[116:119], v29 offset:5120                   // 0000000054A4: DBFE1400 7400001D
	ds_read_b128 a[120:123], v28 offset:6144                   // 0000000054AC: DBFE1800 7800001C
	ds_read_b128 a[124:127], v29 offset:6144                   // 0000000054B4: DBFE1800 7C00001D
	v_exp_f32_e32 v62, v62                                     // 0000000054BC: 7E7C413E
	v_exp_f32_e32 v63, v63                                     // 0000000054C0: 7E7E413F
	v_exp_f32_e32 v64, v64                                     // 0000000054C4: 7E804140
	v_exp_f32_e32 v65, v65                                     // 0000000054C8: 7E824141
	v_exp_f32_e32 v66, v66                                     // 0000000054CC: 7E844142
	v_mfma_f32_32x32x64_f8f6f4 v[172:187], a[120:127], v[44:51], v[172:187]// 0000000054D0: D3AE00AC 0EB25978
	buffer_load_dwordx4 v217, s[20:23], 0 offen offset:192 lds // 0000000054D8: E05D10C0 800500D9
	s_add_i32 m0, m0, 0x3c0                                    // 0000000054E0: 817CFF7C 000003C0
	v_exp_f32_e32 v67, v67                                     // 0000000054E8: 7E864143
	v_exp_f32_e32 v68, v68                                     // 0000000054EC: 7E884144
	v_exp_f32_e32 v69, v69                                     // 0000000054F0: 7E8A4145
	v_exp_f32_e32 v70, v70                                     // 0000000054F4: 7E8C4146
	v_exp_f32_e32 v71, v71                                     // 0000000054F8: 7E8E4147
	v_exp_f32_e32 v72, v72                                     // 0000000054FC: 7E904148
	v_exp_f32_e32 v73, v73                                     // 000000005500: 7E924149
	v_mfma_f32_32x32x64_f8f6f4 v[188:203], a[128:135], v[44:51], v[188:203]// 000000005504: D3AE00BC 0EF25980
	v_exp_f32_e32 v74, v74                                     // 00000000550C: 7E94414A
	v_exp_f32_e32 v75, v75                                     // 000000005510: 7E96414B
	v_mul_f32_e32 v4, v21, v4                                  // 000000005514: 0A080915
	v_mov_b32_e32 v35, v60                                     // 000000005518: 7E46033C
	v_add_f32_e32 v35, v61, v35                                // 00000000551C: 0246473D
	v_add_f32_e32 v35, v62, v35                                // 000000005520: 0246473E
	v_add_f32_e32 v35, v63, v35                                // 000000005524: 0246473F
	v_add_f32_e32 v35, v64, v35                                // 000000005528: 02464740
	ds_read_b128 a[128:131], v28 offset:7168                   // 00000000552C: DBFE1C00 8000001C
	ds_read_b128 a[132:135], v29 offset:7168                   // 000000005534: DBFE1C00 8400001D
	ds_read_b128 a[136:139], v28 offset:8192                   // 00000000553C: DBFE2000 8800001C
	ds_read_b128 a[140:143], v29 offset:8192                   // 000000005544: DBFE2000 8C00001D
	v_add_f32_e32 v35, v65, v35                                // 00000000554C: 02464741
	v_add_f32_e32 v35, v66, v35                                // 000000005550: 02464742
	v_add_f32_e32 v35, v67, v35                                // 000000005554: 02464743
	;; [unrolled: 1-line block ×3, first 2 shown]
	v_add_f32_e32 v35, v69, v35                                // 00000000555C: 02464745
	v_add_f32_e32 v35, v70, v35                                // 000000005560: 02464746
	v_add_f32_e32 v35, v71, v35                                // 000000005564: 02464747
	;; [unrolled: 1-line block ×3, first 2 shown]
	v_add_f32_e32 v35, v73, v35                                // 00000000556C: 02464749
	v_add_f32_e32 v35, v74, v35                                // 000000005570: 0246474A
	v_add_f32_e32 v35, v75, v35                                // 000000005574: 0246474B
	v_add_f32_e32 v4, v35, v4                                  // 000000005578: 02080923
	v_cvt_pk_fp8_f32 v60, v60, v61                             // 00000000557C: D2A2003C 00027B3C
	v_cvt_pk_fp8_f32 v60, v62, v63 op_sel:[0,0,1]              // 000000005584: D2A2403C 00027F3E
	v_cvt_pk_fp8_f32 v61, v64, v65                             // 00000000558C: D2A2003D 00028340
	v_cvt_pk_fp8_f32 v61, v66, v67 op_sel:[0,0,1]              // 000000005594: D2A2403D 00028742
	v_cvt_pk_fp8_f32 v62, v68, v69                             // 00000000559C: D2A2003E 00028B44
	v_cvt_pk_fp8_f32 v62, v70, v71 op_sel:[0,0,1]              // 0000000055A4: D2A2403E 00028F46
	v_cvt_pk_fp8_f32 v63, v72, v73                             // 0000000055AC: D2A2003F 00029348
	v_cvt_pk_fp8_f32 v63, v74, v75 op_sel:[0,0,1]              // 0000000055B4: D2A2403F 0002974A
	s_waitcnt lgkmcnt(8)                                       // 0000000055BC: BF8CC87F
	v_mfma_f32_32x32x64_f8f6f4 v[44:59], a[72:79], a[0:7], 0   // 0000000055C0: D3AE002C 1A020148
	ds_write_b128 v43, v[60:63] offset:1024                    // 0000000055C8: D9BE0400 00003C2B
	v_mul_f32_e32 v76, v21, v76                                // 0000000055D0: 0A989915
	v_mul_f32_e32 v77, v21, v77                                // 0000000055D4: 0A9A9B15
	v_mul_f32_e32 v78, v21, v78                                // 0000000055D8: 0A9C9D15
	v_mul_f32_e32 v79, v21, v79                                // 0000000055DC: 0A9E9F15
	v_mul_f32_e32 v80, v21, v80                                // 0000000055E0: 0AA0A115
	v_mul_f32_e32 v81, v21, v81                                // 0000000055E4: 0AA2A315
	v_mul_f32_e32 v82, v21, v82                                // 0000000055E8: 0AA4A515
	v_mul_f32_e32 v83, v21, v83                                // 0000000055EC: 0AA6A715
	v_mul_f32_e32 v84, v21, v84                                // 0000000055F0: 0AA8A915
	v_mul_f32_e32 v85, v21, v85                                // 0000000055F4: 0AAAAB15
	v_mul_f32_e32 v86, v21, v86                                // 0000000055F8: 0AACAD15
	v_mul_f32_e32 v87, v21, v87                                // 0000000055FC: 0AAEAF15
	v_mul_f32_e32 v88, v21, v88                                // 000000005600: 0AB0B115
	v_mul_f32_e32 v89, v21, v89                                // 000000005604: 0AB2B315
	v_mfma_f32_32x32x64_f8f6f4 v[44:59], a[80:87], a[8:15], v[44:59]// 000000005608: D3AE002C 1CB21150
	buffer_load_dword v32, v34, s[24:27], 0 offen              // 000000005610: E0501000 80062022
	buffer_load_dwordx4 v217, s[20:23], 0 offen offset:256 lds // 000000005618: E05D1100 800500D9
	s_add_i32 m0, m0, 0x3c0                                    // 000000005620: 817CFF7C 000003C0
	v_mul_f32_e32 v90, v21, v90                                // 000000005628: 0AB4B515
	v_mul_f32_e32 v91, v21, v91                                // 00000000562C: 0AB6B715
	v_mul_f32_e32 v92, v21, v92                                // 000000005630: 0AB8B915
	v_mul_f32_e32 v93, v21, v93                                // 000000005634: 0ABABB15
	v_mul_f32_e32 v94, v21, v94                                // 000000005638: 0ABCBD15
	v_mul_f32_e32 v95, v21, v95                                // 00000000563C: 0ABEBF15
	v_mov_b32_e32 v36, v21                                     // 000000005640: 7E480315
	v_mov_b32_e32 v37, v21                                     // 000000005644: 7E4A0315
	v_pk_mul_f32 v[140:141], v[36:37], v[140:141]              // 000000005648: D3B1408C 18031924
	v_pk_mul_f32 v[142:143], v[36:37], v[142:143]              // 000000005650: D3B1408E 18031D24
	s_waitcnt lgkmcnt(0)                                       // 000000005658: BF8CC07F
	s_barrier                                                  // 00000000565C: BF8A0000
	v_mfma_f32_32x32x64_f8f6f4 v[44:59], a[88:95], a[16:23], v[44:59]// 000000005660: D3AE002C 1CB22158
	ds_read_b128 v[60:63], v42 offset:1024                     // 000000005668: D9FE0400 3C00002A
	ds_read_b128 v[64:67], v42 offset:2048                     // 000000005670: D9FE0800 4000002A
	ds_read_b64_tr_b8 a[72:73], v13                            // 000000005678: DBC40000 4800000D
	ds_read_b64_tr_b8 a[74:75], v14                            // 000000005680: DBC40000 4A00000E
	ds_read_b64_tr_b8 a[76:77], v13 offset:18432               // 000000005688: DBC44800 4C00000D
	ds_read_b64_tr_b8 a[78:79], v14 offset:18432               // 000000005690: DBC44800 4E00000E
	ds_read_b64_tr_b8 a[80:81], v15                            // 000000005698: DBC40000 5000000F
	ds_read_b64_tr_b8 a[82:83], v16                            // 0000000056A0: DBC40000 52000010
	ds_read_b64_tr_b8 a[84:85], v15 offset:18432               // 0000000056A8: DBC44800 5400000F
	ds_read_b64_tr_b8 a[86:87], v16 offset:18432               // 0000000056B0: DBC44800 56000010
	v_mul_f32_e32 v96, v21, v96                                // 0000000056B8: 0AC0C115
	v_mul_f32_e32 v97, v21, v97                                // 0000000056BC: 0AC2C315
	v_mul_f32_e32 v98, v21, v98                                // 0000000056C0: 0AC4C515
	v_mul_f32_e32 v99, v21, v99                                // 0000000056C4: 0AC6C715
	v_mul_f32_e32 v100, v21, v100                              // 0000000056C8: 0AC8C915
	v_mul_f32_e32 v101, v21, v101                              // 0000000056CC: 0ACACB15
	v_mul_f32_e32 v102, v21, v102                              // 0000000056D0: 0ACCCD15
	v_mul_f32_e32 v103, v21, v103                              // 0000000056D4: 0ACECF15
	v_mul_f32_e32 v104, v21, v104                              // 0000000056D8: 0AD0D115
	v_mul_f32_e32 v105, v21, v105                              // 0000000056DC: 0AD2D315
	v_mul_f32_e32 v106, v21, v106                              // 0000000056E0: 0AD4D515
	v_mul_f32_e32 v107, v21, v107                              // 0000000056E4: 0AD6D715
	v_add_u32_e32 v34, s73, v34                                // 0000000056E8: 68444449
	v_mfma_f32_32x32x64_f8f6f4 v[44:59], a[96:103], a[24:31], v[44:59]// 0000000056EC: D3AE002C 1CB23160
	buffer_load_dwordx4 v217, s[20:23], 0 offen offset:320 lds // 0000000056F4: E05D1140 800500D9
	s_add_i32 m0, m0, 0x3c0                                    // 0000000056FC: 817CFF7C 000003C0
	v_mul_f32_e32 v108, v21, v108                              // 000000005704: 0AD8D915
	v_mul_f32_e32 v109, v21, v109                              // 000000005708: 0ADADB15
	v_mul_f32_e32 v110, v21, v110                              // 00000000570C: 0ADCDD15
	v_mul_f32_e32 v111, v21, v111                              // 000000005710: 0ADEDF15
	v_mul_f32_e32 v112, v21, v112                              // 000000005714: 0AE0E115
	v_mul_f32_e32 v113, v21, v113                              // 000000005718: 0AE2E315
	v_mul_f32_e32 v114, v21, v114                              // 00000000571C: 0AE4E515
	v_mul_f32_e32 v115, v21, v115                              // 000000005720: 0AE6E715
	v_mul_f32_e32 v116, v21, v116                              // 000000005724: 0AE8E915
	v_mul_f32_e32 v117, v21, v117                              // 000000005728: 0AEAEB15
	v_mul_f32_e32 v118, v21, v118                              // 00000000572C: 0AECED15
	v_mul_f32_e32 v119, v21, v119                              // 000000005730: 0AEEEF15
	v_mfma_f32_32x32x64_f8f6f4 v[44:59], a[104:111], a[32:39], v[44:59]// 000000005734: D3AE002C 1CB24168
	ds_read_b64_tr_b8 a[88:89], v13 offset:1024                // 00000000573C: DBC40400 5800000D
	ds_read_b64_tr_b8 a[90:91], v14 offset:1024                // 000000005744: DBC40400 5A00000E
	ds_read_b64_tr_b8 a[92:93], v13 offset:19456               // 00000000574C: DBC44C00 5C00000D
	ds_read_b64_tr_b8 a[94:95], v14 offset:19456               // 000000005754: DBC44C00 5E00000E
	ds_read_b64_tr_b8 a[96:97], v15 offset:1024                // 00000000575C: DBC40400 6000000F
	ds_read_b64_tr_b8 a[98:99], v16 offset:1024                // 000000005764: DBC40400 62000010
	ds_read_b64_tr_b8 a[100:101], v15 offset:19456             // 00000000576C: DBC44C00 6400000F
	ds_read_b64_tr_b8 a[102:103], v16 offset:19456             // 000000005774: DBC44C00 66000010
	v_mul_f32_e32 v120, v21, v120                              // 00000000577C: 0AF0F115
	v_mul_f32_e32 v121, v21, v121                              // 000000005780: 0AF2F315
	v_mul_f32_e32 v122, v21, v122                              // 000000005784: 0AF4F515
	v_mul_f32_e32 v123, v21, v123                              // 000000005788: 0AF6F715
	v_mul_f32_e32 v124, v21, v124                              // 00000000578C: 0AF8F915
	v_mul_f32_e32 v125, v21, v125                              // 000000005790: 0AFAFB15
	v_mul_f32_e32 v126, v21, v126                              // 000000005794: 0AFCFD15
	v_mul_f32_e32 v127, v21, v127                              // 000000005798: 0AFEFF15
	v_mul_f32_e32 v128, v21, v128                              // 00000000579C: 0B010115
	v_mul_f32_e32 v129, v21, v129                              // 0000000057A0: 0B030315
	v_mul_f32_e32 v130, v21, v130                              // 0000000057A4: 0B050515
	v_mul_f32_e32 v131, v21, v131                              // 0000000057A8: 0B070715
	v_mfma_f32_32x32x64_f8f6f4 v[44:59], a[112:119], a[40:47], v[44:59]// 0000000057AC: D3AE002C 1CB25170
	s_waitcnt lgkmcnt(0)                                       // 0000000057B4: BF8CC07F
	buffer_load_dwordx4 v217, s[20:23], 0 offen offset:384 lds // 0000000057B8: E05D1180 800500D9
	s_add_i32 m0, m0, 0x3c0                                    // 0000000057C0: 817CFF7C 000003C0
	v_mul_f32_e32 v132, v21, v132                              // 0000000057C8: 0B090915
	v_mul_f32_e32 v133, v21, v133                              // 0000000057CC: 0B0B0B15
	v_mul_f32_e32 v134, v21, v134                              // 0000000057D0: 0B0D0D15
	v_mul_f32_e32 v135, v21, v135                              // 0000000057D4: 0B0F0F15
	v_mul_f32_e32 v136, v21, v136                              // 0000000057D8: 0B111115
	v_mul_f32_e32 v137, v21, v137                              // 0000000057DC: 0B131315
	v_mul_f32_e32 v138, v21, v138                              // 0000000057E0: 0B151515
	v_mul_f32_e32 v139, v21, v139                              // 0000000057E4: 0B171715
	v_mfma_f32_32x32x64_f8f6f4 v[44:59], a[120:127], a[48:55], v[44:59]// 0000000057E8: D3AE002C 1CB26178
	ds_read_b64_tr_b8 a[104:105], v13 offset:2048              // 0000000057F0: DBC40800 6800000D
	ds_read_b64_tr_b8 a[106:107], v14 offset:2048              // 0000000057F8: DBC40800 6A00000E
	ds_read_b64_tr_b8 a[108:109], v13 offset:20480             // 000000005800: DBC45000 6C00000D
	ds_read_b64_tr_b8 a[110:111], v14 offset:20480             // 000000005808: DBC45000 6E00000E
	ds_read_b64_tr_b8 a[112:113], v15 offset:2048              // 000000005810: DBC40800 7000000F
	ds_read_b64_tr_b8 a[114:115], v16 offset:2048              // 000000005818: DBC40800 72000010
	ds_read_b64_tr_b8 a[116:117], v15 offset:20480             // 000000005820: DBC45000 7400000F
	ds_read_b64_tr_b8 a[118:119], v16 offset:20480             // 000000005828: DBC45000 76000010
	v_permlane32_swap_b32_e32 v60, v62                         // 000000005830: 7E78B53E
	v_permlane32_swap_b32_e32 v61, v63                         // 000000005834: 7E7AB53F
	v_swap_b32 v61, v62                                        // 000000005838: 7E7AA33E
	v_permlane32_swap_b32_e32 v64, v66                         // 00000000583C: 7E80B542
	v_permlane32_swap_b32_e32 v65, v67                         // 000000005840: 7E82B543
	v_swap_b32 v65, v66                                        // 000000005844: 7E82A342
	v_mfma_f32_32x32x64_f8f6f4 v[44:59], a[128:135], a[56:63], v[44:59]// 000000005848: D3AE002C 1CB27180
	buffer_load_dwordx4 v217, s[20:23], 0 offen offset:448 lds // 000000005850: E05D11C0 800500D9
	s_add_i32 m0, m0, 0x3c0                                    // 000000005858: 817CFF7C 000003C0
	v_pk_mul_f32 v[144:145], v[36:37], v[144:145]              // 000000005860: D3B14090 18032124
	v_pk_mul_f32 v[146:147], v[36:37], v[146:147]              // 000000005868: D3B14092 18032524
	v_pk_mul_f32 v[148:149], v[36:37], v[148:149]              // 000000005870: D3B14094 18032924
	v_pk_mul_f32 v[150:151], v[36:37], v[150:151]              // 000000005878: D3B14096 18032D24
	v_pk_mul_f32 v[152:153], v[36:37], v[152:153]              // 000000005880: D3B14098 18033124
	v_pk_mul_f32 v[154:155], v[36:37], v[154:155]              // 000000005888: D3B1409A 18033524
	v_pk_mul_f32 v[156:157], v[36:37], v[156:157]              // 000000005890: D3B1409C 18033924
	v_pk_mul_f32 v[158:159], v[36:37], v[158:159]              // 000000005898: D3B1409E 18033D24
	v_pk_mul_f32 v[160:161], v[36:37], v[160:161]              // 0000000058A0: D3B140A0 18034124
	v_pk_mul_f32 v[162:163], v[36:37], v[162:163]              // 0000000058A8: D3B140A2 18034524
	v_pk_mul_f32 v[164:165], v[36:37], v[164:165]              // 0000000058B0: D3B140A4 18034924
	v_pk_mul_f32 v[166:167], v[36:37], v[166:167]              // 0000000058B8: D3B140A6 18034D24
	v_pk_mul_f32 v[168:169], v[36:37], v[168:169]              // 0000000058C0: D3B140A8 18035124
	v_pk_mul_f32 v[170:171], v[36:37], v[170:171]              // 0000000058C8: D3B140AA 18035524
	v_pk_mul_f32 v[172:173], v[36:37], v[172:173]              // 0000000058D0: D3B140AC 18035924
	v_pk_mul_f32 v[174:175], v[36:37], v[174:175]              // 0000000058D8: D3B140AE 18035D24
	v_pk_mul_f32 v[176:177], v[36:37], v[176:177]              // 0000000058E0: D3B140B0 18036124
	v_pk_mul_f32 v[178:179], v[36:37], v[178:179]              // 0000000058E8: D3B140B2 18036524
	v_pk_mul_f32 v[180:181], v[36:37], v[180:181]              // 0000000058F0: D3B140B4 18036924
	v_pk_mul_f32 v[182:183], v[36:37], v[182:183]              // 0000000058F8: D3B140B6 18036D24
	v_pk_mul_f32 v[184:185], v[36:37], v[184:185]              // 000000005900: D3B140B8 18037124
	v_pk_mul_f32 v[186:187], v[36:37], v[186:187]              // 000000005908: D3B140BA 18037524
	v_pk_mul_f32 v[188:189], v[36:37], v[188:189]              // 000000005910: D3B140BC 18037924
	v_pk_mul_f32 v[190:191], v[36:37], v[190:191]              // 000000005918: D3B140BE 18037D24
	v_pk_mul_f32 v[192:193], v[36:37], v[192:193]              // 000000005920: D3B140C0 18038124
	v_pk_mul_f32 v[194:195], v[36:37], v[194:195]              // 000000005928: D3B140C2 18038524
	v_pk_mul_f32 v[196:197], v[36:37], v[196:197]              // 000000005930: D3B140C4 18038924
	v_pk_mul_f32 v[198:199], v[36:37], v[198:199]              // 000000005938: D3B140C6 18038D24
	v_pk_mul_f32 v[200:201], v[36:37], v[200:201]              // 000000005940: D3B140C8 18039124
	v_pk_mul_f32 v[202:203], v[36:37], v[202:203]              // 000000005948: D3B140CA 18039524
	v_mfma_f32_32x32x64_f8f6f4 v[44:59], a[136:143], a[64:71], v[44:59]// 000000005950: D3AE002C 1CB28188
	ds_read_b64_tr_b8 a[120:121], v13 offset:3072              // 000000005958: DBC40C00 7800000D
	ds_read_b64_tr_b8 a[122:123], v14 offset:3072              // 000000005960: DBC40C00 7A00000E
	ds_read_b64_tr_b8 a[124:125], v13 offset:21504             // 000000005968: DBC45400 7C00000D
	ds_read_b64_tr_b8 a[126:127], v14 offset:21504             // 000000005970: DBC45400 7E00000E
	ds_read_b64_tr_b8 a[128:129], v15 offset:3072              // 000000005978: DBC40C00 8000000F
	ds_read_b64_tr_b8 a[130:131], v16 offset:3072              // 000000005980: DBC40C00 82000010
	ds_read_b64_tr_b8 a[132:133], v15 offset:21504             // 000000005988: DBC45400 8400000F
	ds_read_b64_tr_b8 a[134:135], v16 offset:21504             // 000000005990: DBC45400 86000010
	buffer_load_dwordx4 v217, s[20:23], 0 offen offset:512 lds // 000000005998: E05D1200 800500D9
	s_add_i32 m0, m0, 0x3c0                                    // 0000000059A0: 817CFF7C 000003C0
	s_addk_i32 s70, 0x1                                        // 0000000059A8: B7460001
	s_cmp_lt_i32 s70, s71                                      // 0000000059AC: BF044746
	s_cbranch_scc0 label_2F74                                  // 0000000059B0: BF84FE30
	v_mul_u32_u24_e64 v217, v31, s68                           // 0000000059B4: D10800D9 0000891F
	v_add_u32_e32 v217, v217, v1                               // 0000000059BC: 69B203D9
	s_waitcnt vmcnt(10)                                        // 0000000059C0: BF8C0F7A
	s_barrier                                                  // 0000000059C4: BF8A0000
	s_waitcnt lgkmcnt(8)                                       // 0000000059C8: BF8CC87F
	v_mfma_f32_32x32x64_f8f6f4 v[76:91], a[72:79], v[60:67], v[76:91]// 0000000059CC: D3AE004C 0D327948
	v_mov_b32_e32 v213, v44                                    // 0000000059D4: 7FAA032C
	v_max3_f32 v213, v44, v45, v213                            // 0000000059D8: D1D300D5 07565B2C
	v_max3_f32 v213, v46, v47, v213                            // 0000000059E0: D1D300D5 07565F2E
	v_max3_f32 v213, v48, v49, v213                            // 0000000059E8: D1D300D5 07566330
	v_max3_f32 v213, v50, v51, v213                            // 0000000059F0: D1D300D5 07566732
	v_max3_f32 v213, v52, v53, v213                            // 0000000059F8: D1D300D5 07566B34
	v_max3_f32 v213, v54, v55, v213                            // 000000005A00: D1D300D5 07566F36
	v_max3_f32 v213, v56, v57, v213                            // 000000005A08: D1D300D5 07567338
	v_max3_f32 v213, v58, v59, v213                            // 000000005A10: D1D300D5 0756773A
	v_mov_b32_e32 v35, v213                                    // 000000005A18: 7E4603D5
	v_mov_b32_e32 v36, v213                                    // 000000005A1C: 7E4803D5
	s_nop 0                                                    // 000000005A20: BF800000
	ds_read_b128 a[72:75], v22                                 // 000000005A24: DBFE0000 48000016
	ds_read_b128 a[76:79], v23                                 // 000000005A2C: DBFE0000 4C000017
	v_mfma_f32_32x32x64_f8f6f4 v[92:107], a[80:87], v[60:67], v[92:107]// 000000005A34: D3AE005C 0D727950
	v_permlane32_swap_b32_e32 v35, v36                         // 000000005A3C: 7E46B524
	v_max3_f32 v213, v35, v36, v213                            // 000000005A40: D1D300D5 07564923
	ds_write_b32 v41, v213                                     // 000000005A48: D81A0000 0000D529
	s_mov_b32 s56, 0x14000                                     // 000000005A50: BEB800FF 00014000
	s_mul_i32 s57, s7, 0x2400                                  // 000000005A58: 9239FF07 00002400
	s_add_u32 m0, s56, s57                                     // 000000005A60: 807C3938
	buffer_load_dwordx4 v217, s[20:23], 0 offen lds            // 000000005A64: E05D1000 800500D9
	s_add_i32 m0, m0, 0x3c0                                    // 000000005A6C: 817CFF7C 000003C0
	buffer_load_dwordx4 v217, s[20:23], 0 offen offset:64 lds  // 000000005A74: E05D1040 800500D9
	s_add_i32 m0, m0, 0x3c0                                    // 000000005A7C: 817CFF7C 000003C0
	s_waitcnt lgkmcnt(0)                                       // 000000005A84: BF8CC07F
	s_barrier                                                  // 000000005A88: BF8A0000
	v_mfma_f32_32x32x64_f8f6f4 v[108:123], a[88:95], v[60:67], v[108:123]// 000000005A8C: D3AE006C 0DB27958
	ds_read_b32 v35, v40                                       // 000000005A94: D86C0000 23000028
	ds_read_b32 v36, v40 offset:256                            // 000000005A9C: D86C0100 24000028
	s_waitcnt lgkmcnt(0)                                       // 000000005AA4: BF8CC07F
	v_max3_f32 v213, v35, v36, v213                            // 000000005AA8: D1D300D5 07564923
	v_mov_b32_e32 v35, 0xff800000                              // 000000005AB0: 7E4602FF FF800000
	v_cmp_eq_u32_e64 s[36:37], v35, v2                         // 000000005AB8: D0CA0024 00020523
	v_max_f32_e32 v216, v213, v2                               // 000000005AC0: 17B005D5
	v_sub_f32_e32 v21, v2, v216                                // 000000005AC4: 042BB102
	v_cndmask_b32_e64 v21, v21, 0, s[36:37]                    // 000000005AC8: D1000015 00910115
	v_mfma_f32_32x32x64_f8f6f4 v[124:139], a[96:103], v[60:67], v[124:139]// 000000005AD0: D3AE007C 0DF27960
	ds_read_b128 a[80:83], v22 offset:1024                     // 000000005AD8: DBFE0400 50000016
	ds_read_b128 a[84:87], v23 offset:1024                     // 000000005AE0: DBFE0400 54000017
	ds_read_b128 a[88:91], v22 offset:2048                     // 000000005AE8: DBFE0800 58000016
	ds_read_b128 a[92:95], v23 offset:2048                     // 000000005AF0: DBFE0800 5C000017
	ds_read_b128 a[96:99], v22 offset:3072                     // 000000005AF8: DBFE0C00 60000016
	ds_read_b128 a[100:103], v23 offset:3072                   // 000000005B00: DBFE0C00 64000017
	v_mov_b32_e32 v2, v216                                     // 000000005B08: 7E0403D8
	v_mul_f32_e32 v212, s5, v216                               // 000000005B0C: 0BA9B005
	v_mul_f32_e32 v21, s5, v21                                 // 000000005B10: 0A2A2A05
	v_exp_f32_e32 v21, v21                                     // 000000005B14: 7E2A4115
	v_fma_f32 v44, v44, s5, -v212                              // 000000005B18: D1CB002C 87500B2C
	v_fma_f32 v45, v45, s5, -v212                              // 000000005B20: D1CB002D 87500B2D
	v_fma_f32 v46, v46, s5, -v212                              // 000000005B28: D1CB002E 87500B2E
	v_fma_f32 v47, v47, s5, -v212                              // 000000005B30: D1CB002F 87500B2F
	v_fma_f32 v48, v48, s5, -v212                              // 000000005B38: D1CB0030 87500B30
	v_mfma_f32_32x32x64_f8f6f4 v[140:155], a[104:111], v[60:67], v[140:155]// 000000005B40: D3AE008C 0E327968
	buffer_load_dwordx4 v217, s[20:23], 0 offen offset:128 lds // 000000005B48: E05D1080 800500D9
	s_add_i32 m0, m0, 0x3c0                                    // 000000005B50: 817CFF7C 000003C0
	v_fma_f32 v49, v49, s5, -v212                              // 000000005B58: D1CB0031 87500B31
	v_fma_f32 v50, v50, s5, -v212                              // 000000005B60: D1CB0032 87500B32
	v_fma_f32 v51, v51, s5, -v212                              // 000000005B68: D1CB0033 87500B33
	v_fma_f32 v52, v52, s5, -v212                              // 000000005B70: D1CB0034 87500B34
	v_fma_f32 v53, v53, s5, -v212                              // 000000005B78: D1CB0035 87500B35
	v_fma_f32 v54, v54, s5, -v212                              // 000000005B80: D1CB0036 87500B36
	v_fma_f32 v55, v55, s5, -v212                              // 000000005B88: D1CB0037 87500B37
	v_fma_f32 v56, v56, s5, -v212                              // 000000005B90: D1CB0038 87500B38
	v_fma_f32 v57, v57, s5, -v212                              // 000000005B98: D1CB0039 87500B39
	v_fma_f32 v58, v58, s5, -v212                              // 000000005BA0: D1CB003A 87500B3A
	v_fma_f32 v59, v59, s5, -v212                              // 000000005BA8: D1CB003B 87500B3B
	v_exp_f32_e32 v44, v44                                     // 000000005BB0: 7E58412C
	v_exp_f32_e32 v45, v45                                     // 000000005BB4: 7E5A412D
	v_mfma_f32_32x32x64_f8f6f4 v[156:171], a[112:119], v[60:67], v[156:171]// 000000005BB8: D3AE009C 0E727970
	ds_read_b128 a[104:107], v22 offset:4096                   // 000000005BC0: DBFE1000 68000016
	ds_read_b128 a[108:111], v23 offset:4096                   // 000000005BC8: DBFE1000 6C000017
	ds_read_b128 a[112:115], v22 offset:5120                   // 000000005BD0: DBFE1400 70000016
	ds_read_b128 a[116:119], v23 offset:5120                   // 000000005BD8: DBFE1400 74000017
	ds_read_b128 a[120:123], v22 offset:6144                   // 000000005BE0: DBFE1800 78000016
	ds_read_b128 a[124:127], v23 offset:6144                   // 000000005BE8: DBFE1800 7C000017
	v_exp_f32_e32 v46, v46                                     // 000000005BF0: 7E5C412E
	v_exp_f32_e32 v47, v47                                     // 000000005BF4: 7E5E412F
	v_exp_f32_e32 v48, v48                                     // 000000005BF8: 7E604130
	v_exp_f32_e32 v49, v49                                     // 000000005BFC: 7E624131
	v_exp_f32_e32 v50, v50                                     // 000000005C00: 7E644132
	v_mfma_f32_32x32x64_f8f6f4 v[172:187], a[120:127], v[60:67], v[172:187]// 000000005C04: D3AE00AC 0EB27978
	buffer_load_dwordx4 v217, s[20:23], 0 offen offset:192 lds // 000000005C0C: E05D10C0 800500D9
	s_add_i32 m0, m0, 0x3c0                                    // 000000005C14: 817CFF7C 000003C0
	v_exp_f32_e32 v51, v51                                     // 000000005C1C: 7E664133
	v_exp_f32_e32 v52, v52                                     // 000000005C20: 7E684134
	v_exp_f32_e32 v53, v53                                     // 000000005C24: 7E6A4135
	v_exp_f32_e32 v54, v54                                     // 000000005C28: 7E6C4136
	v_exp_f32_e32 v55, v55                                     // 000000005C2C: 7E6E4137
	v_exp_f32_e32 v56, v56                                     // 000000005C30: 7E704138
	v_exp_f32_e32 v57, v57                                     // 000000005C34: 7E724139
	v_mfma_f32_32x32x64_f8f6f4 v[188:203], a[128:135], v[60:67], v[188:203]// 000000005C38: D3AE00BC 0EF27980
	v_exp_f32_e32 v58, v58                                     // 000000005C40: 7E74413A
	v_exp_f32_e32 v59, v59                                     // 000000005C44: 7E76413B
	v_mul_f32_e32 v4, v21, v4                                  // 000000005C48: 0A080915
	v_mov_b32_e32 v35, v44                                     // 000000005C4C: 7E46032C
	v_add_f32_e32 v35, v45, v35                                // 000000005C50: 0246472D
	v_add_f32_e32 v35, v46, v35                                // 000000005C54: 0246472E
	v_add_f32_e32 v35, v47, v35                                // 000000005C58: 0246472F
	v_add_f32_e32 v35, v48, v35                                // 000000005C5C: 02464730
	ds_read_b128 a[128:131], v22 offset:7168                   // 000000005C60: DBFE1C00 80000016
	ds_read_b128 a[132:135], v23 offset:7168                   // 000000005C68: DBFE1C00 84000017
	ds_read_b128 a[136:139], v22 offset:8192                   // 000000005C70: DBFE2000 88000016
	ds_read_b128 a[140:143], v23 offset:8192                   // 000000005C78: DBFE2000 8C000017
	v_add_f32_e32 v35, v49, v35                                // 000000005C80: 02464731
	v_add_f32_e32 v35, v50, v35                                // 000000005C84: 02464732
	v_add_f32_e32 v35, v51, v35                                // 000000005C88: 02464733
	v_add_f32_e32 v35, v52, v35                                // 000000005C8C: 02464734
	v_add_f32_e32 v35, v53, v35                                // 000000005C90: 02464735
	v_add_f32_e32 v35, v54, v35                                // 000000005C94: 02464736
	v_add_f32_e32 v35, v55, v35                                // 000000005C98: 02464737
	v_add_f32_e32 v35, v56, v35                                // 000000005C9C: 02464738
	v_add_f32_e32 v35, v57, v35                                // 000000005CA0: 02464739
	v_add_f32_e32 v35, v58, v35                                // 000000005CA4: 0246473A
	v_add_f32_e32 v35, v59, v35                                // 000000005CA8: 0246473B
	v_add_f32_e32 v4, v35, v4                                  // 000000005CAC: 02080923
	v_cvt_pk_fp8_f32 v44, v44, v45                             // 000000005CB0: D2A2002C 00025B2C
	v_cvt_pk_fp8_f32 v44, v46, v47 op_sel:[0,0,1]              // 000000005CB8: D2A2402C 00025F2E
	v_cvt_pk_fp8_f32 v45, v48, v49                             // 000000005CC0: D2A2002D 00026330
	v_cvt_pk_fp8_f32 v45, v50, v51 op_sel:[0,0,1]              // 000000005CC8: D2A2402D 00026732
	v_cvt_pk_fp8_f32 v46, v52, v53                             // 000000005CD0: D2A2002E 00026B34
	v_cvt_pk_fp8_f32 v46, v54, v55 op_sel:[0,0,1]              // 000000005CD8: D2A2402E 00026F36
	v_cvt_pk_fp8_f32 v47, v56, v57                             // 000000005CE0: D2A2002F 00027338
	v_cvt_pk_fp8_f32 v47, v58, v59 op_sel:[0,0,1]              // 000000005CE8: D2A2402F 0002773A
	s_waitcnt lgkmcnt(8)                                       // 000000005CF0: BF8CC87F
	v_mfma_f32_32x32x64_f8f6f4 v[60:75], a[72:79], a[0:7], 0   // 000000005CF4: D3AE003C 1A020148
	ds_write_b128 v43, v[44:47] offset:1024                    // 000000005CFC: D9BE0400 00002C2B
	v_mul_f32_e32 v76, v21, v76                                // 000000005D04: 0A989915
	v_mul_f32_e32 v77, v21, v77                                // 000000005D08: 0A9A9B15
	v_mul_f32_e32 v78, v21, v78                                // 000000005D0C: 0A9C9D15
	v_mul_f32_e32 v79, v21, v79                                // 000000005D10: 0A9E9F15
	v_mul_f32_e32 v80, v21, v80                                // 000000005D14: 0AA0A115
	v_mul_f32_e32 v81, v21, v81                                // 000000005D18: 0AA2A315
	v_mul_f32_e32 v82, v21, v82                                // 000000005D1C: 0AA4A515
	v_mul_f32_e32 v83, v21, v83                                // 000000005D20: 0AA6A715
	v_mul_f32_e32 v84, v21, v84                                // 000000005D24: 0AA8A915
	v_mul_f32_e32 v85, v21, v85                                // 000000005D28: 0AAAAB15
	v_mul_f32_e32 v86, v21, v86                                // 000000005D2C: 0AACAD15
	v_mul_f32_e32 v87, v21, v87                                // 000000005D30: 0AAEAF15
	v_mul_f32_e32 v88, v21, v88                                // 000000005D34: 0AB0B115
	v_mul_f32_e32 v89, v21, v89                                // 000000005D38: 0AB2B315
	v_mfma_f32_32x32x64_f8f6f4 v[60:75], a[80:87], a[8:15], v[60:75]// 000000005D3C: D3AE003C 1CF21150
	buffer_load_dword v33, v34, s[24:27], 0 offen              // 000000005D44: E0501000 80062122
	buffer_load_dwordx4 v217, s[20:23], 0 offen offset:256 lds // 000000005D4C: E05D1100 800500D9
	s_add_i32 m0, m0, 0x3c0                                    // 000000005D54: 817CFF7C 000003C0
	v_mul_f32_e32 v90, v21, v90                                // 000000005D5C: 0AB4B515
	v_mul_f32_e32 v91, v21, v91                                // 000000005D60: 0AB6B715
	v_mul_f32_e32 v92, v21, v92                                // 000000005D64: 0AB8B915
	v_mul_f32_e32 v93, v21, v93                                // 000000005D68: 0ABABB15
	v_mul_f32_e32 v94, v21, v94                                // 000000005D6C: 0ABCBD15
	v_mul_f32_e32 v95, v21, v95                                // 000000005D70: 0ABEBF15
	v_mov_b32_e32 v36, v21                                     // 000000005D74: 7E480315
	v_mov_b32_e32 v37, v21                                     // 000000005D78: 7E4A0315
	v_pk_mul_f32 v[140:141], v[36:37], v[140:141]              // 000000005D7C: D3B1408C 18031924
	v_pk_mul_f32 v[142:143], v[36:37], v[142:143]              // 000000005D84: D3B1408E 18031D24
	s_waitcnt lgkmcnt(0)                                       // 000000005D8C: BF8CC07F
	s_barrier                                                  // 000000005D90: BF8A0000
	v_mfma_f32_32x32x64_f8f6f4 v[60:75], a[88:95], a[16:23], v[60:75]// 000000005D94: D3AE003C 1CF22158
	ds_read_b128 v[44:47], v42 offset:1024                     // 000000005D9C: D9FE0400 2C00002A
	ds_read_b128 v[48:51], v42 offset:2048                     // 000000005DA4: D9FE0800 3000002A
	ds_read_b64_tr_b8 a[72:73], v17                            // 000000005DAC: DBC40000 48000011
	ds_read_b64_tr_b8 a[74:75], v18                            // 000000005DB4: DBC40000 4A000012
	ds_read_b64_tr_b8 a[76:77], v17 offset:18432               // 000000005DBC: DBC44800 4C000011
	ds_read_b64_tr_b8 a[78:79], v18 offset:18432               // 000000005DC4: DBC44800 4E000012
	ds_read_b64_tr_b8 a[80:81], v19                            // 000000005DCC: DBC40000 50000013
	ds_read_b64_tr_b8 a[82:83], v20                            // 000000005DD4: DBC40000 52000014
	ds_read_b64_tr_b8 a[84:85], v19 offset:18432               // 000000005DDC: DBC44800 54000013
	ds_read_b64_tr_b8 a[86:87], v20 offset:18432               // 000000005DE4: DBC44800 56000014
	v_mul_f32_e32 v96, v21, v96                                // 000000005DEC: 0AC0C115
	v_mul_f32_e32 v97, v21, v97                                // 000000005DF0: 0AC2C315
	v_mul_f32_e32 v98, v21, v98                                // 000000005DF4: 0AC4C515
	v_mul_f32_e32 v99, v21, v99                                // 000000005DF8: 0AC6C715
	v_mul_f32_e32 v100, v21, v100                              // 000000005DFC: 0AC8C915
	v_mul_f32_e32 v101, v21, v101                              // 000000005E00: 0ACACB15
	v_mul_f32_e32 v102, v21, v102                              // 000000005E04: 0ACCCD15
	v_mul_f32_e32 v103, v21, v103                              // 000000005E08: 0ACECF15
	v_mul_f32_e32 v104, v21, v104                              // 000000005E0C: 0AD0D115
	v_mul_f32_e32 v105, v21, v105                              // 000000005E10: 0AD2D315
	v_mul_f32_e32 v106, v21, v106                              // 000000005E14: 0AD4D515
	v_mul_f32_e32 v107, v21, v107                              // 000000005E18: 0AD6D715
	v_add_u32_e32 v34, s73, v34                                // 000000005E1C: 68444449
	v_mfma_f32_32x32x64_f8f6f4 v[60:75], a[96:103], a[24:31], v[60:75]// 000000005E20: D3AE003C 1CF23160
	buffer_load_dwordx4 v217, s[20:23], 0 offen offset:320 lds // 000000005E28: E05D1140 800500D9
	s_add_i32 m0, m0, 0x3c0                                    // 000000005E30: 817CFF7C 000003C0
	v_mul_f32_e32 v108, v21, v108                              // 000000005E38: 0AD8D915
	v_mul_f32_e32 v109, v21, v109                              // 000000005E3C: 0ADADB15
	v_mul_f32_e32 v110, v21, v110                              // 000000005E40: 0ADCDD15
	v_mul_f32_e32 v111, v21, v111                              // 000000005E44: 0ADEDF15
	v_mul_f32_e32 v112, v21, v112                              // 000000005E48: 0AE0E115
	v_mul_f32_e32 v113, v21, v113                              // 000000005E4C: 0AE2E315
	v_mul_f32_e32 v114, v21, v114                              // 000000005E50: 0AE4E515
	v_mul_f32_e32 v115, v21, v115                              // 000000005E54: 0AE6E715
	v_mul_f32_e32 v116, v21, v116                              // 000000005E58: 0AE8E915
	v_mul_f32_e32 v117, v21, v117                              // 000000005E5C: 0AEAEB15
	v_mul_f32_e32 v118, v21, v118                              // 000000005E60: 0AECED15
	v_mul_f32_e32 v119, v21, v119                              // 000000005E64: 0AEEEF15
	v_mfma_f32_32x32x64_f8f6f4 v[60:75], a[104:111], a[32:39], v[60:75]// 000000005E68: D3AE003C 1CF24168
	ds_read_b64_tr_b8 a[88:89], v17 offset:1024                // 000000005E70: DBC40400 58000011
	ds_read_b64_tr_b8 a[90:91], v18 offset:1024                // 000000005E78: DBC40400 5A000012
	ds_read_b64_tr_b8 a[92:93], v17 offset:19456               // 000000005E80: DBC44C00 5C000011
	ds_read_b64_tr_b8 a[94:95], v18 offset:19456               // 000000005E88: DBC44C00 5E000012
	ds_read_b64_tr_b8 a[96:97], v19 offset:1024                // 000000005E90: DBC40400 60000013
	ds_read_b64_tr_b8 a[98:99], v20 offset:1024                // 000000005E98: DBC40400 62000014
	ds_read_b64_tr_b8 a[100:101], v19 offset:19456             // 000000005EA0: DBC44C00 64000013
	ds_read_b64_tr_b8 a[102:103], v20 offset:19456             // 000000005EA8: DBC44C00 66000014
	v_mul_f32_e32 v120, v21, v120                              // 000000005EB0: 0AF0F115
	v_mul_f32_e32 v121, v21, v121                              // 000000005EB4: 0AF2F315
	v_mul_f32_e32 v122, v21, v122                              // 000000005EB8: 0AF4F515
	v_mul_f32_e32 v123, v21, v123                              // 000000005EBC: 0AF6F715
	v_mul_f32_e32 v124, v21, v124                              // 000000005EC0: 0AF8F915
	v_mul_f32_e32 v125, v21, v125                              // 000000005EC4: 0AFAFB15
	v_mul_f32_e32 v126, v21, v126                              // 000000005EC8: 0AFCFD15
	v_mul_f32_e32 v127, v21, v127                              // 000000005ECC: 0AFEFF15
	v_mul_f32_e32 v128, v21, v128                              // 000000005ED0: 0B010115
	v_mul_f32_e32 v129, v21, v129                              // 000000005ED4: 0B030315
	v_mul_f32_e32 v130, v21, v130                              // 000000005ED8: 0B050515
	v_mul_f32_e32 v131, v21, v131                              // 000000005EDC: 0B070715
	v_mfma_f32_32x32x64_f8f6f4 v[60:75], a[112:119], a[40:47], v[60:75]// 000000005EE0: D3AE003C 1CF25170
	s_waitcnt lgkmcnt(0)                                       // 000000005EE8: BF8CC07F
	buffer_load_dwordx4 v217, s[20:23], 0 offen offset:384 lds // 000000005EEC: E05D1180 800500D9
	s_add_i32 m0, m0, 0x3c0                                    // 000000005EF4: 817CFF7C 000003C0
	v_mul_f32_e32 v132, v21, v132                              // 000000005EFC: 0B090915
	v_mul_f32_e32 v133, v21, v133                              // 000000005F00: 0B0B0B15
	v_mul_f32_e32 v134, v21, v134                              // 000000005F04: 0B0D0D15
	v_mul_f32_e32 v135, v21, v135                              // 000000005F08: 0B0F0F15
	v_mul_f32_e32 v136, v21, v136                              // 000000005F0C: 0B111115
	v_mul_f32_e32 v137, v21, v137                              // 000000005F10: 0B131315
	v_mul_f32_e32 v138, v21, v138                              // 000000005F14: 0B151515
	v_mul_f32_e32 v139, v21, v139                              // 000000005F18: 0B171715
	v_mfma_f32_32x32x64_f8f6f4 v[60:75], a[120:127], a[48:55], v[60:75]// 000000005F1C: D3AE003C 1CF26178
	ds_read_b64_tr_b8 a[104:105], v17 offset:2048              // 000000005F24: DBC40800 68000011
	ds_read_b64_tr_b8 a[106:107], v18 offset:2048              // 000000005F2C: DBC40800 6A000012
	ds_read_b64_tr_b8 a[108:109], v17 offset:20480             // 000000005F34: DBC45000 6C000011
	ds_read_b64_tr_b8 a[110:111], v18 offset:20480             // 000000005F3C: DBC45000 6E000012
	ds_read_b64_tr_b8 a[112:113], v19 offset:2048              // 000000005F44: DBC40800 70000013
	ds_read_b64_tr_b8 a[114:115], v20 offset:2048              // 000000005F4C: DBC40800 72000014
	ds_read_b64_tr_b8 a[116:117], v19 offset:20480             // 000000005F54: DBC45000 74000013
	ds_read_b64_tr_b8 a[118:119], v20 offset:20480             // 000000005F5C: DBC45000 76000014
	v_permlane32_swap_b32_e32 v44, v46                         // 000000005F64: 7E58B52E
	v_permlane32_swap_b32_e32 v45, v47                         // 000000005F68: 7E5AB52F
	v_swap_b32 v45, v46                                        // 000000005F6C: 7E5AA32E
	v_permlane32_swap_b32_e32 v48, v50                         // 000000005F70: 7E60B532
	v_permlane32_swap_b32_e32 v49, v51                         // 000000005F74: 7E62B533
	v_swap_b32 v49, v50                                        // 000000005F78: 7E62A332
	v_mfma_f32_32x32x64_f8f6f4 v[60:75], a[128:135], a[56:63], v[60:75]// 000000005F7C: D3AE003C 1CF27180
	buffer_load_dwordx4 v217, s[20:23], 0 offen offset:448 lds // 000000005F84: E05D11C0 800500D9
	s_add_i32 m0, m0, 0x3c0                                    // 000000005F8C: 817CFF7C 000003C0
	v_pk_mul_f32 v[144:145], v[36:37], v[144:145]              // 000000005F94: D3B14090 18032124
	v_pk_mul_f32 v[146:147], v[36:37], v[146:147]              // 000000005F9C: D3B14092 18032524
	v_pk_mul_f32 v[148:149], v[36:37], v[148:149]              // 000000005FA4: D3B14094 18032924
	v_pk_mul_f32 v[150:151], v[36:37], v[150:151]              // 000000005FAC: D3B14096 18032D24
	v_pk_mul_f32 v[152:153], v[36:37], v[152:153]              // 000000005FB4: D3B14098 18033124
	v_pk_mul_f32 v[154:155], v[36:37], v[154:155]              // 000000005FBC: D3B1409A 18033524
	v_pk_mul_f32 v[156:157], v[36:37], v[156:157]              // 000000005FC4: D3B1409C 18033924
	v_pk_mul_f32 v[158:159], v[36:37], v[158:159]              // 000000005FCC: D3B1409E 18033D24
	v_pk_mul_f32 v[160:161], v[36:37], v[160:161]              // 000000005FD4: D3B140A0 18034124
	v_pk_mul_f32 v[162:163], v[36:37], v[162:163]              // 000000005FDC: D3B140A2 18034524
	v_pk_mul_f32 v[164:165], v[36:37], v[164:165]              // 000000005FE4: D3B140A4 18034924
	v_pk_mul_f32 v[166:167], v[36:37], v[166:167]              // 000000005FEC: D3B140A6 18034D24
	v_pk_mul_f32 v[168:169], v[36:37], v[168:169]              // 000000005FF4: D3B140A8 18035124
	v_pk_mul_f32 v[170:171], v[36:37], v[170:171]              // 000000005FFC: D3B140AA 18035524
	v_pk_mul_f32 v[172:173], v[36:37], v[172:173]              // 000000006004: D3B140AC 18035924
	v_pk_mul_f32 v[174:175], v[36:37], v[174:175]              // 00000000600C: D3B140AE 18035D24
	v_pk_mul_f32 v[176:177], v[36:37], v[176:177]              // 000000006014: D3B140B0 18036124
	v_pk_mul_f32 v[178:179], v[36:37], v[178:179]              // 00000000601C: D3B140B2 18036524
	v_pk_mul_f32 v[180:181], v[36:37], v[180:181]              // 000000006024: D3B140B4 18036924
	v_pk_mul_f32 v[182:183], v[36:37], v[182:183]              // 00000000602C: D3B140B6 18036D24
	v_pk_mul_f32 v[184:185], v[36:37], v[184:185]              // 000000006034: D3B140B8 18037124
	v_pk_mul_f32 v[186:187], v[36:37], v[186:187]              // 00000000603C: D3B140BA 18037524
	v_pk_mul_f32 v[188:189], v[36:37], v[188:189]              // 000000006044: D3B140BC 18037924
	v_pk_mul_f32 v[190:191], v[36:37], v[190:191]              // 00000000604C: D3B140BE 18037D24
	v_pk_mul_f32 v[192:193], v[36:37], v[192:193]              // 000000006054: D3B140C0 18038124
	v_pk_mul_f32 v[194:195], v[36:37], v[194:195]              // 00000000605C: D3B140C2 18038524
	v_pk_mul_f32 v[196:197], v[36:37], v[196:197]              // 000000006064: D3B140C4 18038924
	v_pk_mul_f32 v[198:199], v[36:37], v[198:199]              // 00000000606C: D3B140C6 18038D24
	v_pk_mul_f32 v[200:201], v[36:37], v[200:201]              // 000000006074: D3B140C8 18039124
	v_pk_mul_f32 v[202:203], v[36:37], v[202:203]              // 00000000607C: D3B140CA 18039524
	v_mfma_f32_32x32x64_f8f6f4 v[60:75], a[136:143], a[64:71], v[60:75]// 000000006084: D3AE003C 1CF28188
	ds_read_b64_tr_b8 a[120:121], v17 offset:3072              // 00000000608C: DBC40C00 78000011
	ds_read_b64_tr_b8 a[122:123], v18 offset:3072              // 000000006094: DBC40C00 7A000012
	ds_read_b64_tr_b8 a[124:125], v17 offset:21504             // 00000000609C: DBC45400 7C000011
	ds_read_b64_tr_b8 a[126:127], v18 offset:21504             // 0000000060A4: DBC45400 7E000012
	ds_read_b64_tr_b8 a[128:129], v19 offset:3072              // 0000000060AC: DBC40C00 80000013
	ds_read_b64_tr_b8 a[130:131], v20 offset:3072              // 0000000060B4: DBC40C00 82000014
	ds_read_b64_tr_b8 a[132:133], v19 offset:21504             // 0000000060BC: DBC45400 84000013
	ds_read_b64_tr_b8 a[134:135], v20 offset:21504             // 0000000060C4: DBC45400 86000014
	buffer_load_dwordx4 v217, s[20:23], 0 offen offset:512 lds // 0000000060CC: E05D1200 800500D9
	s_add_i32 m0, m0, 0x3c0                                    // 0000000060D4: 817CFF7C 000003C0
	s_addk_i32 s70, 0x1                                        // 0000000060DC: B7460001
	s_cmp_lt_i32 s70, s71                                      // 0000000060E0: BF044746
	s_cbranch_scc0 label_2F74                                  // 0000000060E4: BF84FC63
	v_mul_u32_u24_e64 v217, v32, s68                           // 0000000060E8: D10800D9 00008920
	v_add_u32_e32 v217, v217, v1                               // 0000000060F0: 69B203D9
	s_waitcnt vmcnt(10)                                        // 0000000060F4: BF8C0F7A
	s_barrier                                                  // 0000000060F8: BF8A0000
	s_waitcnt lgkmcnt(8)                                       // 0000000060FC: BF8CC87F
	v_mfma_f32_32x32x64_f8f6f4 v[76:91], a[72:79], v[44:51], v[76:91]// 000000006100: D3AE004C 0D325948
	v_mov_b32_e32 v213, v60                                    // 000000006108: 7FAA033C
	v_max3_f32 v213, v60, v61, v213                            // 00000000610C: D1D300D5 07567B3C
	v_max3_f32 v213, v62, v63, v213                            // 000000006114: D1D300D5 07567F3E
	v_max3_f32 v213, v64, v65, v213                            // 00000000611C: D1D300D5 07568340
	v_max3_f32 v213, v66, v67, v213                            // 000000006124: D1D300D5 07568742
	v_max3_f32 v213, v68, v69, v213                            // 00000000612C: D1D300D5 07568B44
	v_max3_f32 v213, v70, v71, v213                            // 000000006134: D1D300D5 07568F46
	v_max3_f32 v213, v72, v73, v213                            // 00000000613C: D1D300D5 07569348
	v_max3_f32 v213, v74, v75, v213                            // 000000006144: D1D300D5 0756974A
	v_mov_b32_e32 v35, v213                                    // 00000000614C: 7E4603D5
	v_mov_b32_e32 v36, v213                                    // 000000006150: 7E4803D5
	s_nop 0                                                    // 000000006154: BF800000
	ds_read_b128 a[72:75], v24                                 // 000000006158: DBFE0000 48000018
	ds_read_b128 a[76:79], v25                                 // 000000006160: DBFE0000 4C000019
	v_mfma_f32_32x32x64_f8f6f4 v[92:107], a[80:87], v[44:51], v[92:107]// 000000006168: D3AE005C 0D725950
	v_permlane32_swap_b32_e32 v35, v36                         // 000000006170: 7E46B524
	v_max3_f32 v213, v35, v36, v213                            // 000000006174: D1D300D5 07564923
	ds_write_b32 v41, v213                                     // 00000000617C: D81A0000 0000D529
	s_mov_b32 s56, 0x1d000                                     // 000000006184: BEB800FF 0001D000
	s_mul_i32 s57, s7, 0x2400                                  // 00000000618C: 9239FF07 00002400
	s_add_u32 m0, s56, s57                                     // 000000006194: 807C3938
	buffer_load_dwordx4 v217, s[20:23], 0 offen lds            // 000000006198: E05D1000 800500D9
	s_add_i32 m0, m0, 0x3c0                                    // 0000000061A0: 817CFF7C 000003C0
	buffer_load_dwordx4 v217, s[20:23], 0 offen offset:64 lds  // 0000000061A8: E05D1040 800500D9
	s_add_i32 m0, m0, 0x3c0                                    // 0000000061B0: 817CFF7C 000003C0
	s_waitcnt lgkmcnt(0)                                       // 0000000061B8: BF8CC07F
	s_barrier                                                  // 0000000061BC: BF8A0000
	v_mfma_f32_32x32x64_f8f6f4 v[108:123], a[88:95], v[44:51], v[108:123]// 0000000061C0: D3AE006C 0DB25958
	ds_read_b32 v35, v40                                       // 0000000061C8: D86C0000 23000028
	ds_read_b32 v36, v40 offset:256                            // 0000000061D0: D86C0100 24000028
	s_waitcnt lgkmcnt(0)                                       // 0000000061D8: BF8CC07F
	v_max3_f32 v213, v35, v36, v213                            // 0000000061DC: D1D300D5 07564923
	v_mov_b32_e32 v35, 0xff800000                              // 0000000061E4: 7E4602FF FF800000
	v_cmp_eq_u32_e64 s[36:37], v35, v2                         // 0000000061EC: D0CA0024 00020523
	v_max_f32_e32 v216, v213, v2                               // 0000000061F4: 17B005D5
	v_sub_f32_e32 v21, v2, v216                                // 0000000061F8: 042BB102
	v_cndmask_b32_e64 v21, v21, 0, s[36:37]                    // 0000000061FC: D1000015 00910115
	v_mfma_f32_32x32x64_f8f6f4 v[124:139], a[96:103], v[44:51], v[124:139]// 000000006204: D3AE007C 0DF25960
	ds_read_b128 a[80:83], v24 offset:1024                     // 00000000620C: DBFE0400 50000018
	ds_read_b128 a[84:87], v25 offset:1024                     // 000000006214: DBFE0400 54000019
	ds_read_b128 a[88:91], v24 offset:2048                     // 00000000621C: DBFE0800 58000018
	ds_read_b128 a[92:95], v25 offset:2048                     // 000000006224: DBFE0800 5C000019
	ds_read_b128 a[96:99], v24 offset:3072                     // 00000000622C: DBFE0C00 60000018
	ds_read_b128 a[100:103], v25 offset:3072                   // 000000006234: DBFE0C00 64000019
	v_mov_b32_e32 v2, v216                                     // 00000000623C: 7E0403D8
	v_mul_f32_e32 v212, s5, v216                               // 000000006240: 0BA9B005
	v_mul_f32_e32 v21, s5, v21                                 // 000000006244: 0A2A2A05
	v_exp_f32_e32 v21, v21                                     // 000000006248: 7E2A4115
	v_fma_f32 v60, v60, s5, -v212                              // 00000000624C: D1CB003C 87500B3C
	v_fma_f32 v61, v61, s5, -v212                              // 000000006254: D1CB003D 87500B3D
	v_fma_f32 v62, v62, s5, -v212                              // 00000000625C: D1CB003E 87500B3E
	v_fma_f32 v63, v63, s5, -v212                              // 000000006264: D1CB003F 87500B3F
	v_fma_f32 v64, v64, s5, -v212                              // 00000000626C: D1CB0040 87500B40
	v_mfma_f32_32x32x64_f8f6f4 v[140:155], a[104:111], v[44:51], v[140:155]// 000000006274: D3AE008C 0E325968
	buffer_load_dwordx4 v217, s[20:23], 0 offen offset:128 lds // 00000000627C: E05D1080 800500D9
	s_add_i32 m0, m0, 0x3c0                                    // 000000006284: 817CFF7C 000003C0
	v_fma_f32 v65, v65, s5, -v212                              // 00000000628C: D1CB0041 87500B41
	v_fma_f32 v66, v66, s5, -v212                              // 000000006294: D1CB0042 87500B42
	v_fma_f32 v67, v67, s5, -v212                              // 00000000629C: D1CB0043 87500B43
	v_fma_f32 v68, v68, s5, -v212                              // 0000000062A4: D1CB0044 87500B44
	v_fma_f32 v69, v69, s5, -v212                              // 0000000062AC: D1CB0045 87500B45
	v_fma_f32 v70, v70, s5, -v212                              // 0000000062B4: D1CB0046 87500B46
	v_fma_f32 v71, v71, s5, -v212                              // 0000000062BC: D1CB0047 87500B47
	v_fma_f32 v72, v72, s5, -v212                              // 0000000062C4: D1CB0048 87500B48
	v_fma_f32 v73, v73, s5, -v212                              // 0000000062CC: D1CB0049 87500B49
	v_fma_f32 v74, v74, s5, -v212                              // 0000000062D4: D1CB004A 87500B4A
	v_fma_f32 v75, v75, s5, -v212                              // 0000000062DC: D1CB004B 87500B4B
	v_exp_f32_e32 v60, v60                                     // 0000000062E4: 7E78413C
	v_exp_f32_e32 v61, v61                                     // 0000000062E8: 7E7A413D
	v_mfma_f32_32x32x64_f8f6f4 v[156:171], a[112:119], v[44:51], v[156:171]// 0000000062EC: D3AE009C 0E725970
	ds_read_b128 a[104:107], v24 offset:4096                   // 0000000062F4: DBFE1000 68000018
	ds_read_b128 a[108:111], v25 offset:4096                   // 0000000062FC: DBFE1000 6C000019
	ds_read_b128 a[112:115], v24 offset:5120                   // 000000006304: DBFE1400 70000018
	ds_read_b128 a[116:119], v25 offset:5120                   // 00000000630C: DBFE1400 74000019
	ds_read_b128 a[120:123], v24 offset:6144                   // 000000006314: DBFE1800 78000018
	ds_read_b128 a[124:127], v25 offset:6144                   // 00000000631C: DBFE1800 7C000019
	v_exp_f32_e32 v62, v62                                     // 000000006324: 7E7C413E
	v_exp_f32_e32 v63, v63                                     // 000000006328: 7E7E413F
	v_exp_f32_e32 v64, v64                                     // 00000000632C: 7E804140
	v_exp_f32_e32 v65, v65                                     // 000000006330: 7E824141
	v_exp_f32_e32 v66, v66                                     // 000000006334: 7E844142
	v_mfma_f32_32x32x64_f8f6f4 v[172:187], a[120:127], v[44:51], v[172:187]// 000000006338: D3AE00AC 0EB25978
	buffer_load_dwordx4 v217, s[20:23], 0 offen offset:192 lds // 000000006340: E05D10C0 800500D9
	s_add_i32 m0, m0, 0x3c0                                    // 000000006348: 817CFF7C 000003C0
	v_exp_f32_e32 v67, v67                                     // 000000006350: 7E864143
	v_exp_f32_e32 v68, v68                                     // 000000006354: 7E884144
	v_exp_f32_e32 v69, v69                                     // 000000006358: 7E8A4145
	v_exp_f32_e32 v70, v70                                     // 00000000635C: 7E8C4146
	v_exp_f32_e32 v71, v71                                     // 000000006360: 7E8E4147
	v_exp_f32_e32 v72, v72                                     // 000000006364: 7E904148
	v_exp_f32_e32 v73, v73                                     // 000000006368: 7E924149
	v_mfma_f32_32x32x64_f8f6f4 v[188:203], a[128:135], v[44:51], v[188:203]// 00000000636C: D3AE00BC 0EF25980
	v_exp_f32_e32 v74, v74                                     // 000000006374: 7E94414A
	v_exp_f32_e32 v75, v75                                     // 000000006378: 7E96414B
	v_mul_f32_e32 v4, v21, v4                                  // 00000000637C: 0A080915
	v_mov_b32_e32 v35, v60                                     // 000000006380: 7E46033C
	v_add_f32_e32 v35, v61, v35                                // 000000006384: 0246473D
	v_add_f32_e32 v35, v62, v35                                // 000000006388: 0246473E
	v_add_f32_e32 v35, v63, v35                                // 00000000638C: 0246473F
	v_add_f32_e32 v35, v64, v35                                // 000000006390: 02464740
	ds_read_b128 a[128:131], v24 offset:7168                   // 000000006394: DBFE1C00 80000018
	ds_read_b128 a[132:135], v25 offset:7168                   // 00000000639C: DBFE1C00 84000019
	ds_read_b128 a[136:139], v24 offset:8192                   // 0000000063A4: DBFE2000 88000018
	ds_read_b128 a[140:143], v25 offset:8192                   // 0000000063AC: DBFE2000 8C000019
	v_add_f32_e32 v35, v65, v35                                // 0000000063B4: 02464741
	v_add_f32_e32 v35, v66, v35                                // 0000000063B8: 02464742
	v_add_f32_e32 v35, v67, v35                                // 0000000063BC: 02464743
	v_add_f32_e32 v35, v68, v35                                // 0000000063C0: 02464744
	v_add_f32_e32 v35, v69, v35                                // 0000000063C4: 02464745
	v_add_f32_e32 v35, v70, v35                                // 0000000063C8: 02464746
	v_add_f32_e32 v35, v71, v35                                // 0000000063CC: 02464747
	v_add_f32_e32 v35, v72, v35                                // 0000000063D0: 02464748
	v_add_f32_e32 v35, v73, v35                                // 0000000063D4: 02464749
	v_add_f32_e32 v35, v74, v35                                // 0000000063D8: 0246474A
	v_add_f32_e32 v35, v75, v35                                // 0000000063DC: 0246474B
	v_add_f32_e32 v4, v35, v4                                  // 0000000063E0: 02080923
	v_cvt_pk_fp8_f32 v60, v60, v61                             // 0000000063E4: D2A2003C 00027B3C
	v_cvt_pk_fp8_f32 v60, v62, v63 op_sel:[0,0,1]              // 0000000063EC: D2A2403C 00027F3E
	v_cvt_pk_fp8_f32 v61, v64, v65                             // 0000000063F4: D2A2003D 00028340
	v_cvt_pk_fp8_f32 v61, v66, v67 op_sel:[0,0,1]              // 0000000063FC: D2A2403D 00028742
	v_cvt_pk_fp8_f32 v62, v68, v69                             // 000000006404: D2A2003E 00028B44
	v_cvt_pk_fp8_f32 v62, v70, v71 op_sel:[0,0,1]              // 00000000640C: D2A2403E 00028F46
	v_cvt_pk_fp8_f32 v63, v72, v73                             // 000000006414: D2A2003F 00029348
	v_cvt_pk_fp8_f32 v63, v74, v75 op_sel:[0,0,1]              // 00000000641C: D2A2403F 0002974A
	s_waitcnt lgkmcnt(8)                                       // 000000006424: BF8CC87F
	v_mfma_f32_32x32x64_f8f6f4 v[44:59], a[72:79], a[0:7], 0   // 000000006428: D3AE002C 1A020148
	ds_write_b128 v43, v[60:63] offset:1024                    // 000000006430: D9BE0400 00003C2B
	v_mul_f32_e32 v76, v21, v76                                // 000000006438: 0A989915
	v_mul_f32_e32 v77, v21, v77                                // 00000000643C: 0A9A9B15
	v_mul_f32_e32 v78, v21, v78                                // 000000006440: 0A9C9D15
	v_mul_f32_e32 v79, v21, v79                                // 000000006444: 0A9E9F15
	v_mul_f32_e32 v80, v21, v80                                // 000000006448: 0AA0A115
	v_mul_f32_e32 v81, v21, v81                                // 00000000644C: 0AA2A315
	v_mul_f32_e32 v82, v21, v82                                // 000000006450: 0AA4A515
	v_mul_f32_e32 v83, v21, v83                                // 000000006454: 0AA6A715
	v_mul_f32_e32 v84, v21, v84                                // 000000006458: 0AA8A915
	v_mul_f32_e32 v85, v21, v85                                // 00000000645C: 0AAAAB15
	v_mul_f32_e32 v86, v21, v86                                // 000000006460: 0AACAD15
	v_mul_f32_e32 v87, v21, v87                                // 000000006464: 0AAEAF15
	v_mul_f32_e32 v88, v21, v88                                // 000000006468: 0AB0B115
	v_mul_f32_e32 v89, v21, v89                                // 00000000646C: 0AB2B315
	v_mfma_f32_32x32x64_f8f6f4 v[44:59], a[80:87], a[8:15], v[44:59]// 000000006470: D3AE002C 1CB21150
	buffer_load_dword v30, v34, s[24:27], 0 offen              // 000000006478: E0501000 80061E22
	buffer_load_dwordx4 v217, s[20:23], 0 offen offset:256 lds // 000000006480: E05D1100 800500D9
	s_add_i32 m0, m0, 0x3c0                                    // 000000006488: 817CFF7C 000003C0
	v_mul_f32_e32 v90, v21, v90                                // 000000006490: 0AB4B515
	v_mul_f32_e32 v91, v21, v91                                // 000000006494: 0AB6B715
	v_mul_f32_e32 v92, v21, v92                                // 000000006498: 0AB8B915
	v_mul_f32_e32 v93, v21, v93                                // 00000000649C: 0ABABB15
	v_mul_f32_e32 v94, v21, v94                                // 0000000064A0: 0ABCBD15
	v_mul_f32_e32 v95, v21, v95                                // 0000000064A4: 0ABEBF15
	v_mov_b32_e32 v36, v21                                     // 0000000064A8: 7E480315
	v_mov_b32_e32 v37, v21                                     // 0000000064AC: 7E4A0315
	v_pk_mul_f32 v[140:141], v[36:37], v[140:141]              // 0000000064B0: D3B1408C 18031924
	v_pk_mul_f32 v[142:143], v[36:37], v[142:143]              // 0000000064B8: D3B1408E 18031D24
	s_waitcnt lgkmcnt(0)                                       // 0000000064C0: BF8CC07F
	s_barrier                                                  // 0000000064C4: BF8A0000
	v_mfma_f32_32x32x64_f8f6f4 v[44:59], a[88:95], a[16:23], v[44:59]// 0000000064C8: D3AE002C 1CB22158
	ds_read_b128 v[60:63], v42 offset:1024                     // 0000000064D0: D9FE0400 3C00002A
	ds_read_b128 v[64:67], v42 offset:2048                     // 0000000064D8: D9FE0800 4000002A
	ds_read_b64_tr_b8 a[72:73], v5                             // 0000000064E0: DBC40000 48000005
	ds_read_b64_tr_b8 a[74:75], v6                             // 0000000064E8: DBC40000 4A000006
	ds_read_b64_tr_b8 a[76:77], v5 offset:18432                // 0000000064F0: DBC44800 4C000005
	ds_read_b64_tr_b8 a[78:79], v6 offset:18432                // 0000000064F8: DBC44800 4E000006
	ds_read_b64_tr_b8 a[80:81], v7                             // 000000006500: DBC40000 50000007
	ds_read_b64_tr_b8 a[82:83], v8                             // 000000006508: DBC40000 52000008
	ds_read_b64_tr_b8 a[84:85], v7 offset:18432                // 000000006510: DBC44800 54000007
	ds_read_b64_tr_b8 a[86:87], v8 offset:18432                // 000000006518: DBC44800 56000008
	v_mul_f32_e32 v96, v21, v96                                // 000000006520: 0AC0C115
	v_mul_f32_e32 v97, v21, v97                                // 000000006524: 0AC2C315
	v_mul_f32_e32 v98, v21, v98                                // 000000006528: 0AC4C515
	v_mul_f32_e32 v99, v21, v99                                // 00000000652C: 0AC6C715
	v_mul_f32_e32 v100, v21, v100                              // 000000006530: 0AC8C915
	v_mul_f32_e32 v101, v21, v101                              // 000000006534: 0ACACB15
	v_mul_f32_e32 v102, v21, v102                              // 000000006538: 0ACCCD15
	v_mul_f32_e32 v103, v21, v103                              // 00000000653C: 0ACECF15
	v_mul_f32_e32 v104, v21, v104                              // 000000006540: 0AD0D115
	v_mul_f32_e32 v105, v21, v105                              // 000000006544: 0AD2D315
	v_mul_f32_e32 v106, v21, v106                              // 000000006548: 0AD4D515
	v_mul_f32_e32 v107, v21, v107                              // 00000000654C: 0AD6D715
	v_add_u32_e32 v34, s73, v34                                // 000000006550: 68444449
	v_mfma_f32_32x32x64_f8f6f4 v[44:59], a[96:103], a[24:31], v[44:59]// 000000006554: D3AE002C 1CB23160
	buffer_load_dwordx4 v217, s[20:23], 0 offen offset:320 lds // 00000000655C: E05D1140 800500D9
	s_add_i32 m0, m0, 0x3c0                                    // 000000006564: 817CFF7C 000003C0
	v_mul_f32_e32 v108, v21, v108                              // 00000000656C: 0AD8D915
	v_mul_f32_e32 v109, v21, v109                              // 000000006570: 0ADADB15
	v_mul_f32_e32 v110, v21, v110                              // 000000006574: 0ADCDD15
	v_mul_f32_e32 v111, v21, v111                              // 000000006578: 0ADEDF15
	v_mul_f32_e32 v112, v21, v112                              // 00000000657C: 0AE0E115
	v_mul_f32_e32 v113, v21, v113                              // 000000006580: 0AE2E315
	v_mul_f32_e32 v114, v21, v114                              // 000000006584: 0AE4E515
	v_mul_f32_e32 v115, v21, v115                              // 000000006588: 0AE6E715
	v_mul_f32_e32 v116, v21, v116                              // 00000000658C: 0AE8E915
	v_mul_f32_e32 v117, v21, v117                              // 000000006590: 0AEAEB15
	v_mul_f32_e32 v118, v21, v118                              // 000000006594: 0AECED15
	v_mul_f32_e32 v119, v21, v119                              // 000000006598: 0AEEEF15
	v_mfma_f32_32x32x64_f8f6f4 v[44:59], a[104:111], a[32:39], v[44:59]// 00000000659C: D3AE002C 1CB24168
	ds_read_b64_tr_b8 a[88:89], v5 offset:1024                 // 0000000065A4: DBC40400 58000005
	ds_read_b64_tr_b8 a[90:91], v6 offset:1024                 // 0000000065AC: DBC40400 5A000006
	ds_read_b64_tr_b8 a[92:93], v5 offset:19456                // 0000000065B4: DBC44C00 5C000005
	ds_read_b64_tr_b8 a[94:95], v6 offset:19456                // 0000000065BC: DBC44C00 5E000006
	ds_read_b64_tr_b8 a[96:97], v7 offset:1024                 // 0000000065C4: DBC40400 60000007
	ds_read_b64_tr_b8 a[98:99], v8 offset:1024                 // 0000000065CC: DBC40400 62000008
	ds_read_b64_tr_b8 a[100:101], v7 offset:19456              // 0000000065D4: DBC44C00 64000007
	ds_read_b64_tr_b8 a[102:103], v8 offset:19456              // 0000000065DC: DBC44C00 66000008
	v_mul_f32_e32 v120, v21, v120                              // 0000000065E4: 0AF0F115
	v_mul_f32_e32 v121, v21, v121                              // 0000000065E8: 0AF2F315
	v_mul_f32_e32 v122, v21, v122                              // 0000000065EC: 0AF4F515
	v_mul_f32_e32 v123, v21, v123                              // 0000000065F0: 0AF6F715
	v_mul_f32_e32 v124, v21, v124                              // 0000000065F4: 0AF8F915
	v_mul_f32_e32 v125, v21, v125                              // 0000000065F8: 0AFAFB15
	v_mul_f32_e32 v126, v21, v126                              // 0000000065FC: 0AFCFD15
	v_mul_f32_e32 v127, v21, v127                              // 000000006600: 0AFEFF15
	v_mul_f32_e32 v128, v21, v128                              // 000000006604: 0B010115
	v_mul_f32_e32 v129, v21, v129                              // 000000006608: 0B030315
	v_mul_f32_e32 v130, v21, v130                              // 00000000660C: 0B050515
	v_mul_f32_e32 v131, v21, v131                              // 000000006610: 0B070715
	v_mfma_f32_32x32x64_f8f6f4 v[44:59], a[112:119], a[40:47], v[44:59]// 000000006614: D3AE002C 1CB25170
	s_waitcnt lgkmcnt(0)                                       // 00000000661C: BF8CC07F
	buffer_load_dwordx4 v217, s[20:23], 0 offen offset:384 lds // 000000006620: E05D1180 800500D9
	s_add_i32 m0, m0, 0x3c0                                    // 000000006628: 817CFF7C 000003C0
	v_mul_f32_e32 v132, v21, v132                              // 000000006630: 0B090915
	v_mul_f32_e32 v133, v21, v133                              // 000000006634: 0B0B0B15
	v_mul_f32_e32 v134, v21, v134                              // 000000006638: 0B0D0D15
	v_mul_f32_e32 v135, v21, v135                              // 00000000663C: 0B0F0F15
	v_mul_f32_e32 v136, v21, v136                              // 000000006640: 0B111115
	v_mul_f32_e32 v137, v21, v137                              // 000000006644: 0B131315
	v_mul_f32_e32 v138, v21, v138                              // 000000006648: 0B151515
	v_mul_f32_e32 v139, v21, v139                              // 00000000664C: 0B171715
	v_mfma_f32_32x32x64_f8f6f4 v[44:59], a[120:127], a[48:55], v[44:59]// 000000006650: D3AE002C 1CB26178
	ds_read_b64_tr_b8 a[104:105], v5 offset:2048               // 000000006658: DBC40800 68000005
	ds_read_b64_tr_b8 a[106:107], v6 offset:2048               // 000000006660: DBC40800 6A000006
	ds_read_b64_tr_b8 a[108:109], v5 offset:20480              // 000000006668: DBC45000 6C000005
	ds_read_b64_tr_b8 a[110:111], v6 offset:20480              // 000000006670: DBC45000 6E000006
	ds_read_b64_tr_b8 a[112:113], v7 offset:2048               // 000000006678: DBC40800 70000007
	ds_read_b64_tr_b8 a[114:115], v8 offset:2048               // 000000006680: DBC40800 72000008
	ds_read_b64_tr_b8 a[116:117], v7 offset:20480              // 000000006688: DBC45000 74000007
	ds_read_b64_tr_b8 a[118:119], v8 offset:20480              // 000000006690: DBC45000 76000008
	v_permlane32_swap_b32_e32 v60, v62                         // 000000006698: 7E78B53E
	v_permlane32_swap_b32_e32 v61, v63                         // 00000000669C: 7E7AB53F
	v_swap_b32 v61, v62                                        // 0000000066A0: 7E7AA33E
	v_permlane32_swap_b32_e32 v64, v66                         // 0000000066A4: 7E80B542
	v_permlane32_swap_b32_e32 v65, v67                         // 0000000066A8: 7E82B543
	v_swap_b32 v65, v66                                        // 0000000066AC: 7E82A342
	v_mfma_f32_32x32x64_f8f6f4 v[44:59], a[128:135], a[56:63], v[44:59]// 0000000066B0: D3AE002C 1CB27180
	buffer_load_dwordx4 v217, s[20:23], 0 offen offset:448 lds // 0000000066B8: E05D11C0 800500D9
	s_add_i32 m0, m0, 0x3c0                                    // 0000000066C0: 817CFF7C 000003C0
	v_pk_mul_f32 v[144:145], v[36:37], v[144:145]              // 0000000066C8: D3B14090 18032124
	v_pk_mul_f32 v[146:147], v[36:37], v[146:147]              // 0000000066D0: D3B14092 18032524
	v_pk_mul_f32 v[148:149], v[36:37], v[148:149]              // 0000000066D8: D3B14094 18032924
	v_pk_mul_f32 v[150:151], v[36:37], v[150:151]              // 0000000066E0: D3B14096 18032D24
	v_pk_mul_f32 v[152:153], v[36:37], v[152:153]              // 0000000066E8: D3B14098 18033124
	v_pk_mul_f32 v[154:155], v[36:37], v[154:155]              // 0000000066F0: D3B1409A 18033524
	v_pk_mul_f32 v[156:157], v[36:37], v[156:157]              // 0000000066F8: D3B1409C 18033924
	v_pk_mul_f32 v[158:159], v[36:37], v[158:159]              // 000000006700: D3B1409E 18033D24
	v_pk_mul_f32 v[160:161], v[36:37], v[160:161]              // 000000006708: D3B140A0 18034124
	v_pk_mul_f32 v[162:163], v[36:37], v[162:163]              // 000000006710: D3B140A2 18034524
	v_pk_mul_f32 v[164:165], v[36:37], v[164:165]              // 000000006718: D3B140A4 18034924
	v_pk_mul_f32 v[166:167], v[36:37], v[166:167]              // 000000006720: D3B140A6 18034D24
	v_pk_mul_f32 v[168:169], v[36:37], v[168:169]              // 000000006728: D3B140A8 18035124
	v_pk_mul_f32 v[170:171], v[36:37], v[170:171]              // 000000006730: D3B140AA 18035524
	v_pk_mul_f32 v[172:173], v[36:37], v[172:173]              // 000000006738: D3B140AC 18035924
	v_pk_mul_f32 v[174:175], v[36:37], v[174:175]              // 000000006740: D3B140AE 18035D24
	v_pk_mul_f32 v[176:177], v[36:37], v[176:177]              // 000000006748: D3B140B0 18036124
	v_pk_mul_f32 v[178:179], v[36:37], v[178:179]              // 000000006750: D3B140B2 18036524
	v_pk_mul_f32 v[180:181], v[36:37], v[180:181]              // 000000006758: D3B140B4 18036924
	v_pk_mul_f32 v[182:183], v[36:37], v[182:183]              // 000000006760: D3B140B6 18036D24
	v_pk_mul_f32 v[184:185], v[36:37], v[184:185]              // 000000006768: D3B140B8 18037124
	v_pk_mul_f32 v[186:187], v[36:37], v[186:187]              // 000000006770: D3B140BA 18037524
	v_pk_mul_f32 v[188:189], v[36:37], v[188:189]              // 000000006778: D3B140BC 18037924
	v_pk_mul_f32 v[190:191], v[36:37], v[190:191]              // 000000006780: D3B140BE 18037D24
	v_pk_mul_f32 v[192:193], v[36:37], v[192:193]              // 000000006788: D3B140C0 18038124
	v_pk_mul_f32 v[194:195], v[36:37], v[194:195]              // 000000006790: D3B140C2 18038524
	v_pk_mul_f32 v[196:197], v[36:37], v[196:197]              // 000000006798: D3B140C4 18038924
	v_pk_mul_f32 v[198:199], v[36:37], v[198:199]              // 0000000067A0: D3B140C6 18038D24
	v_pk_mul_f32 v[200:201], v[36:37], v[200:201]              // 0000000067A8: D3B140C8 18039124
	v_pk_mul_f32 v[202:203], v[36:37], v[202:203]              // 0000000067B0: D3B140CA 18039524
	v_mfma_f32_32x32x64_f8f6f4 v[44:59], a[136:143], a[64:71], v[44:59]// 0000000067B8: D3AE002C 1CB28188
	ds_read_b64_tr_b8 a[120:121], v5 offset:3072               // 0000000067C0: DBC40C00 78000005
	ds_read_b64_tr_b8 a[122:123], v6 offset:3072               // 0000000067C8: DBC40C00 7A000006
	ds_read_b64_tr_b8 a[124:125], v5 offset:21504              // 0000000067D0: DBC45400 7C000005
	ds_read_b64_tr_b8 a[126:127], v6 offset:21504              // 0000000067D8: DBC45400 7E000006
	ds_read_b64_tr_b8 a[128:129], v7 offset:3072               // 0000000067E0: DBC40C00 80000007
	ds_read_b64_tr_b8 a[130:131], v8 offset:3072               // 0000000067E8: DBC40C00 82000008
	ds_read_b64_tr_b8 a[132:133], v7 offset:21504              // 0000000067F0: DBC45400 84000007
	ds_read_b64_tr_b8 a[134:135], v8 offset:21504              // 0000000067F8: DBC45400 86000008
	buffer_load_dwordx4 v217, s[20:23], 0 offen offset:512 lds // 000000006800: E05D1200 800500D9
	s_add_i32 m0, m0, 0x3c0                                    // 000000006808: 817CFF7C 000003C0
	s_addk_i32 s70, 0x1                                        // 000000006810: B7460001
	s_cmp_lt_i32 s70, s71                                      // 000000006814: BF044746
	s_cbranch_scc0 label_2F74                                  // 000000006818: BF84FA96
	v_mul_u32_u24_e64 v217, v33, s68                           // 00000000681C: D10800D9 00008921
	v_add_u32_e32 v217, v217, v1                               // 000000006824: 69B203D9
	s_waitcnt vmcnt(10)                                        // 000000006828: BF8C0F7A
	s_barrier                                                  // 00000000682C: BF8A0000
	s_waitcnt lgkmcnt(8)                                       // 000000006830: BF8CC87F
	v_mfma_f32_32x32x64_f8f6f4 v[76:91], a[72:79], v[60:67], v[76:91]// 000000006834: D3AE004C 0D327948
	v_mov_b32_e32 v213, v44                                    // 00000000683C: 7FAA032C
	v_max3_f32 v213, v44, v45, v213                            // 000000006840: D1D300D5 07565B2C
	v_max3_f32 v213, v46, v47, v213                            // 000000006848: D1D300D5 07565F2E
	v_max3_f32 v213, v48, v49, v213                            // 000000006850: D1D300D5 07566330
	v_max3_f32 v213, v50, v51, v213                            // 000000006858: D1D300D5 07566732
	v_max3_f32 v213, v52, v53, v213                            // 000000006860: D1D300D5 07566B34
	v_max3_f32 v213, v54, v55, v213                            // 000000006868: D1D300D5 07566F36
	v_max3_f32 v213, v56, v57, v213                            // 000000006870: D1D300D5 07567338
	v_max3_f32 v213, v58, v59, v213                            // 000000006878: D1D300D5 0756773A
	v_mov_b32_e32 v35, v213                                    // 000000006880: 7E4603D5
	v_mov_b32_e32 v36, v213                                    // 000000006884: 7E4803D5
	s_nop 0                                                    // 000000006888: BF800000
	ds_read_b128 a[72:75], v26                                 // 00000000688C: DBFE0000 4800001A
	ds_read_b128 a[76:79], v27                                 // 000000006894: DBFE0000 4C00001B
	v_mfma_f32_32x32x64_f8f6f4 v[92:107], a[80:87], v[60:67], v[92:107]// 00000000689C: D3AE005C 0D727950
	v_permlane32_swap_b32_e32 v35, v36                         // 0000000068A4: 7E46B524
	v_max3_f32 v213, v35, v36, v213                            // 0000000068A8: D1D300D5 07564923
	ds_write_b32 v41, v213                                     // 0000000068B0: D81A0000 0000D529
	s_mov_b32 s56, 0x2000                                      // 0000000068B8: BEB800FF 00002000
	s_mul_i32 s57, s7, 0x2400                                  // 0000000068C0: 9239FF07 00002400
	s_add_u32 m0, s56, s57                                     // 0000000068C8: 807C3938
	buffer_load_dwordx4 v217, s[20:23], 0 offen lds            // 0000000068CC: E05D1000 800500D9
	s_add_i32 m0, m0, 0x3c0                                    // 0000000068D4: 817CFF7C 000003C0
	buffer_load_dwordx4 v217, s[20:23], 0 offen offset:64 lds  // 0000000068DC: E05D1040 800500D9
	s_add_i32 m0, m0, 0x3c0                                    // 0000000068E4: 817CFF7C 000003C0
	s_waitcnt lgkmcnt(0)                                       // 0000000068EC: BF8CC07F
	s_barrier                                                  // 0000000068F0: BF8A0000
	v_mfma_f32_32x32x64_f8f6f4 v[108:123], a[88:95], v[60:67], v[108:123]// 0000000068F4: D3AE006C 0DB27958
	ds_read_b32 v35, v40                                       // 0000000068FC: D86C0000 23000028
	ds_read_b32 v36, v40 offset:256                            // 000000006904: D86C0100 24000028
	s_waitcnt lgkmcnt(0)                                       // 00000000690C: BF8CC07F
	v_max3_f32 v213, v35, v36, v213                            // 000000006910: D1D300D5 07564923
	v_mov_b32_e32 v35, 0xff800000                              // 000000006918: 7E4602FF FF800000
	v_cmp_eq_u32_e64 s[36:37], v35, v2                         // 000000006920: D0CA0024 00020523
	v_max_f32_e32 v216, v213, v2                               // 000000006928: 17B005D5
	v_sub_f32_e32 v21, v2, v216                                // 00000000692C: 042BB102
	v_cndmask_b32_e64 v21, v21, 0, s[36:37]                    // 000000006930: D1000015 00910115
	v_mfma_f32_32x32x64_f8f6f4 v[124:139], a[96:103], v[60:67], v[124:139]// 000000006938: D3AE007C 0DF27960
	ds_read_b128 a[80:83], v26 offset:1024                     // 000000006940: DBFE0400 5000001A
	ds_read_b128 a[84:87], v27 offset:1024                     // 000000006948: DBFE0400 5400001B
	ds_read_b128 a[88:91], v26 offset:2048                     // 000000006950: DBFE0800 5800001A
	ds_read_b128 a[92:95], v27 offset:2048                     // 000000006958: DBFE0800 5C00001B
	ds_read_b128 a[96:99], v26 offset:3072                     // 000000006960: DBFE0C00 6000001A
	ds_read_b128 a[100:103], v27 offset:3072                   // 000000006968: DBFE0C00 6400001B
	v_mov_b32_e32 v2, v216                                     // 000000006970: 7E0403D8
	v_mul_f32_e32 v212, s5, v216                               // 000000006974: 0BA9B005
	v_mul_f32_e32 v21, s5, v21                                 // 000000006978: 0A2A2A05
	v_exp_f32_e32 v21, v21                                     // 00000000697C: 7E2A4115
	v_fma_f32 v44, v44, s5, -v212                              // 000000006980: D1CB002C 87500B2C
	v_fma_f32 v45, v45, s5, -v212                              // 000000006988: D1CB002D 87500B2D
	v_fma_f32 v46, v46, s5, -v212                              // 000000006990: D1CB002E 87500B2E
	v_fma_f32 v47, v47, s5, -v212                              // 000000006998: D1CB002F 87500B2F
	v_fma_f32 v48, v48, s5, -v212                              // 0000000069A0: D1CB0030 87500B30
	v_mfma_f32_32x32x64_f8f6f4 v[140:155], a[104:111], v[60:67], v[140:155]// 0000000069A8: D3AE008C 0E327968
	buffer_load_dwordx4 v217, s[20:23], 0 offen offset:128 lds // 0000000069B0: E05D1080 800500D9
	s_add_i32 m0, m0, 0x3c0                                    // 0000000069B8: 817CFF7C 000003C0
	v_fma_f32 v49, v49, s5, -v212                              // 0000000069C0: D1CB0031 87500B31
	v_fma_f32 v50, v50, s5, -v212                              // 0000000069C8: D1CB0032 87500B32
	v_fma_f32 v51, v51, s5, -v212                              // 0000000069D0: D1CB0033 87500B33
	v_fma_f32 v52, v52, s5, -v212                              // 0000000069D8: D1CB0034 87500B34
	v_fma_f32 v53, v53, s5, -v212                              // 0000000069E0: D1CB0035 87500B35
	v_fma_f32 v54, v54, s5, -v212                              // 0000000069E8: D1CB0036 87500B36
	v_fma_f32 v55, v55, s5, -v212                              // 0000000069F0: D1CB0037 87500B37
	v_fma_f32 v56, v56, s5, -v212                              // 0000000069F8: D1CB0038 87500B38
	v_fma_f32 v57, v57, s5, -v212                              // 000000006A00: D1CB0039 87500B39
	v_fma_f32 v58, v58, s5, -v212                              // 000000006A08: D1CB003A 87500B3A
	v_fma_f32 v59, v59, s5, -v212                              // 000000006A10: D1CB003B 87500B3B
	v_exp_f32_e32 v44, v44                                     // 000000006A18: 7E58412C
	v_exp_f32_e32 v45, v45                                     // 000000006A1C: 7E5A412D
	v_mfma_f32_32x32x64_f8f6f4 v[156:171], a[112:119], v[60:67], v[156:171]// 000000006A20: D3AE009C 0E727970
	ds_read_b128 a[104:107], v26 offset:4096                   // 000000006A28: DBFE1000 6800001A
	ds_read_b128 a[108:111], v27 offset:4096                   // 000000006A30: DBFE1000 6C00001B
	ds_read_b128 a[112:115], v26 offset:5120                   // 000000006A38: DBFE1400 7000001A
	ds_read_b128 a[116:119], v27 offset:5120                   // 000000006A40: DBFE1400 7400001B
	ds_read_b128 a[120:123], v26 offset:6144                   // 000000006A48: DBFE1800 7800001A
	ds_read_b128 a[124:127], v27 offset:6144                   // 000000006A50: DBFE1800 7C00001B
	v_exp_f32_e32 v46, v46                                     // 000000006A58: 7E5C412E
	v_exp_f32_e32 v47, v47                                     // 000000006A5C: 7E5E412F
	v_exp_f32_e32 v48, v48                                     // 000000006A60: 7E604130
	v_exp_f32_e32 v49, v49                                     // 000000006A64: 7E624131
	v_exp_f32_e32 v50, v50                                     // 000000006A68: 7E644132
	v_mfma_f32_32x32x64_f8f6f4 v[172:187], a[120:127], v[60:67], v[172:187]// 000000006A6C: D3AE00AC 0EB27978
	buffer_load_dwordx4 v217, s[20:23], 0 offen offset:192 lds // 000000006A74: E05D10C0 800500D9
	s_add_i32 m0, m0, 0x3c0                                    // 000000006A7C: 817CFF7C 000003C0
	v_exp_f32_e32 v51, v51                                     // 000000006A84: 7E664133
	v_exp_f32_e32 v52, v52                                     // 000000006A88: 7E684134
	v_exp_f32_e32 v53, v53                                     // 000000006A8C: 7E6A4135
	v_exp_f32_e32 v54, v54                                     // 000000006A90: 7E6C4136
	v_exp_f32_e32 v55, v55                                     // 000000006A94: 7E6E4137
	v_exp_f32_e32 v56, v56                                     // 000000006A98: 7E704138
	v_exp_f32_e32 v57, v57                                     // 000000006A9C: 7E724139
	v_mfma_f32_32x32x64_f8f6f4 v[188:203], a[128:135], v[60:67], v[188:203]// 000000006AA0: D3AE00BC 0EF27980
	v_exp_f32_e32 v58, v58                                     // 000000006AA8: 7E74413A
	v_exp_f32_e32 v59, v59                                     // 000000006AAC: 7E76413B
	v_mul_f32_e32 v4, v21, v4                                  // 000000006AB0: 0A080915
	v_mov_b32_e32 v35, v44                                     // 000000006AB4: 7E46032C
	v_add_f32_e32 v35, v45, v35                                // 000000006AB8: 0246472D
	v_add_f32_e32 v35, v46, v35                                // 000000006ABC: 0246472E
	v_add_f32_e32 v35, v47, v35                                // 000000006AC0: 0246472F
	v_add_f32_e32 v35, v48, v35                                // 000000006AC4: 02464730
	ds_read_b128 a[128:131], v26 offset:7168                   // 000000006AC8: DBFE1C00 8000001A
	ds_read_b128 a[132:135], v27 offset:7168                   // 000000006AD0: DBFE1C00 8400001B
	ds_read_b128 a[136:139], v26 offset:8192                   // 000000006AD8: DBFE2000 8800001A
	ds_read_b128 a[140:143], v27 offset:8192                   // 000000006AE0: DBFE2000 8C00001B
	v_add_f32_e32 v35, v49, v35                                // 000000006AE8: 02464731
	v_add_f32_e32 v35, v50, v35                                // 000000006AEC: 02464732
	v_add_f32_e32 v35, v51, v35                                // 000000006AF0: 02464733
	v_add_f32_e32 v35, v52, v35                                // 000000006AF4: 02464734
	v_add_f32_e32 v35, v53, v35                                // 000000006AF8: 02464735
	v_add_f32_e32 v35, v54, v35                                // 000000006AFC: 02464736
	v_add_f32_e32 v35, v55, v35                                // 000000006B00: 02464737
	v_add_f32_e32 v35, v56, v35                                // 000000006B04: 02464738
	v_add_f32_e32 v35, v57, v35                                // 000000006B08: 02464739
	v_add_f32_e32 v35, v58, v35                                // 000000006B0C: 0246473A
	v_add_f32_e32 v35, v59, v35                                // 000000006B10: 0246473B
	v_add_f32_e32 v4, v35, v4                                  // 000000006B14: 02080923
	v_cvt_pk_fp8_f32 v44, v44, v45                             // 000000006B18: D2A2002C 00025B2C
	v_cvt_pk_fp8_f32 v44, v46, v47 op_sel:[0,0,1]              // 000000006B20: D2A2402C 00025F2E
	v_cvt_pk_fp8_f32 v45, v48, v49                             // 000000006B28: D2A2002D 00026330
	v_cvt_pk_fp8_f32 v45, v50, v51 op_sel:[0,0,1]              // 000000006B30: D2A2402D 00026732
	v_cvt_pk_fp8_f32 v46, v52, v53                             // 000000006B38: D2A2002E 00026B34
	v_cvt_pk_fp8_f32 v46, v54, v55 op_sel:[0,0,1]              // 000000006B40: D2A2402E 00026F36
	v_cvt_pk_fp8_f32 v47, v56, v57                             // 000000006B48: D2A2002F 00027338
	v_cvt_pk_fp8_f32 v47, v58, v59 op_sel:[0,0,1]              // 000000006B50: D2A2402F 0002773A
	s_waitcnt lgkmcnt(8)                                       // 000000006B58: BF8CC87F
	v_mfma_f32_32x32x64_f8f6f4 v[60:75], a[72:79], a[0:7], 0   // 000000006B5C: D3AE003C 1A020148
	ds_write_b128 v43, v[44:47] offset:1024                    // 000000006B64: D9BE0400 00002C2B
	v_mul_f32_e32 v76, v21, v76                                // 000000006B6C: 0A989915
	v_mul_f32_e32 v77, v21, v77                                // 000000006B70: 0A9A9B15
	v_mul_f32_e32 v78, v21, v78                                // 000000006B74: 0A9C9D15
	v_mul_f32_e32 v79, v21, v79                                // 000000006B78: 0A9E9F15
	v_mul_f32_e32 v80, v21, v80                                // 000000006B7C: 0AA0A115
	v_mul_f32_e32 v81, v21, v81                                // 000000006B80: 0AA2A315
	v_mul_f32_e32 v82, v21, v82                                // 000000006B84: 0AA4A515
	v_mul_f32_e32 v83, v21, v83                                // 000000006B88: 0AA6A715
	v_mul_f32_e32 v84, v21, v84                                // 000000006B8C: 0AA8A915
	v_mul_f32_e32 v85, v21, v85                                // 000000006B90: 0AAAAB15
	v_mul_f32_e32 v86, v21, v86                                // 000000006B94: 0AACAD15
	v_mul_f32_e32 v87, v21, v87                                // 000000006B98: 0AAEAF15
	v_mul_f32_e32 v88, v21, v88                                // 000000006B9C: 0AB0B115
	v_mul_f32_e32 v89, v21, v89                                // 000000006BA0: 0AB2B315
	v_mfma_f32_32x32x64_f8f6f4 v[60:75], a[80:87], a[8:15], v[60:75]// 000000006BA4: D3AE003C 1CF21150
	buffer_load_dword v31, v34, s[24:27], 0 offen              // 000000006BAC: E0501000 80061F22
	buffer_load_dwordx4 v217, s[20:23], 0 offen offset:256 lds // 000000006BB4: E05D1100 800500D9
	s_add_i32 m0, m0, 0x3c0                                    // 000000006BBC: 817CFF7C 000003C0
	v_mul_f32_e32 v90, v21, v90                                // 000000006BC4: 0AB4B515
	v_mul_f32_e32 v91, v21, v91                                // 000000006BC8: 0AB6B715
	v_mul_f32_e32 v92, v21, v92                                // 000000006BCC: 0AB8B915
	v_mul_f32_e32 v93, v21, v93                                // 000000006BD0: 0ABABB15
	v_mul_f32_e32 v94, v21, v94                                // 000000006BD4: 0ABCBD15
	v_mul_f32_e32 v95, v21, v95                                // 000000006BD8: 0ABEBF15
	v_mov_b32_e32 v36, v21                                     // 000000006BDC: 7E480315
	v_mov_b32_e32 v37, v21                                     // 000000006BE0: 7E4A0315
	v_pk_mul_f32 v[140:141], v[36:37], v[140:141]              // 000000006BE4: D3B1408C 18031924
	v_pk_mul_f32 v[142:143], v[36:37], v[142:143]              // 000000006BEC: D3B1408E 18031D24
	s_waitcnt lgkmcnt(0)                                       // 000000006BF4: BF8CC07F
	s_barrier                                                  // 000000006BF8: BF8A0000
	v_mfma_f32_32x32x64_f8f6f4 v[60:75], a[88:95], a[16:23], v[60:75]// 000000006BFC: D3AE003C 1CF22158
	ds_read_b128 v[44:47], v42 offset:1024                     // 000000006C04: D9FE0400 2C00002A
	ds_read_b128 v[48:51], v42 offset:2048                     // 000000006C0C: D9FE0800 3000002A
	ds_read_b64_tr_b8 a[72:73], v9                             // 000000006C14: DBC40000 48000009
	ds_read_b64_tr_b8 a[74:75], v10                            // 000000006C1C: DBC40000 4A00000A
	ds_read_b64_tr_b8 a[76:77], v9 offset:18432                // 000000006C24: DBC44800 4C000009
	ds_read_b64_tr_b8 a[78:79], v10 offset:18432               // 000000006C2C: DBC44800 4E00000A
	ds_read_b64_tr_b8 a[80:81], v11                            // 000000006C34: DBC40000 5000000B
	ds_read_b64_tr_b8 a[82:83], v12                            // 000000006C3C: DBC40000 5200000C
	ds_read_b64_tr_b8 a[84:85], v11 offset:18432               // 000000006C44: DBC44800 5400000B
	ds_read_b64_tr_b8 a[86:87], v12 offset:18432               // 000000006C4C: DBC44800 5600000C
	v_mul_f32_e32 v96, v21, v96                                // 000000006C54: 0AC0C115
	v_mul_f32_e32 v97, v21, v97                                // 000000006C58: 0AC2C315
	v_mul_f32_e32 v98, v21, v98                                // 000000006C5C: 0AC4C515
	v_mul_f32_e32 v99, v21, v99                                // 000000006C60: 0AC6C715
	v_mul_f32_e32 v100, v21, v100                              // 000000006C64: 0AC8C915
	v_mul_f32_e32 v101, v21, v101                              // 000000006C68: 0ACACB15
	v_mul_f32_e32 v102, v21, v102                              // 000000006C6C: 0ACCCD15
	v_mul_f32_e32 v103, v21, v103                              // 000000006C70: 0ACECF15
	v_mul_f32_e32 v104, v21, v104                              // 000000006C74: 0AD0D115
	v_mul_f32_e32 v105, v21, v105                              // 000000006C78: 0AD2D315
	v_mul_f32_e32 v106, v21, v106                              // 000000006C7C: 0AD4D515
	v_mul_f32_e32 v107, v21, v107                              // 000000006C80: 0AD6D715
	v_add_u32_e32 v34, s73, v34                                // 000000006C84: 68444449
	v_mfma_f32_32x32x64_f8f6f4 v[60:75], a[96:103], a[24:31], v[60:75]// 000000006C88: D3AE003C 1CF23160
	buffer_load_dwordx4 v217, s[20:23], 0 offen offset:320 lds // 000000006C90: E05D1140 800500D9
	s_add_i32 m0, m0, 0x3c0                                    // 000000006C98: 817CFF7C 000003C0
	v_mul_f32_e32 v108, v21, v108                              // 000000006CA0: 0AD8D915
	v_mul_f32_e32 v109, v21, v109                              // 000000006CA4: 0ADADB15
	v_mul_f32_e32 v110, v21, v110                              // 000000006CA8: 0ADCDD15
	v_mul_f32_e32 v111, v21, v111                              // 000000006CAC: 0ADEDF15
	v_mul_f32_e32 v112, v21, v112                              // 000000006CB0: 0AE0E115
	v_mul_f32_e32 v113, v21, v113                              // 000000006CB4: 0AE2E315
	v_mul_f32_e32 v114, v21, v114                              // 000000006CB8: 0AE4E515
	v_mul_f32_e32 v115, v21, v115                              // 000000006CBC: 0AE6E715
	v_mul_f32_e32 v116, v21, v116                              // 000000006CC0: 0AE8E915
	v_mul_f32_e32 v117, v21, v117                              // 000000006CC4: 0AEAEB15
	v_mul_f32_e32 v118, v21, v118                              // 000000006CC8: 0AECED15
	v_mul_f32_e32 v119, v21, v119                              // 000000006CCC: 0AEEEF15
	v_mfma_f32_32x32x64_f8f6f4 v[60:75], a[104:111], a[32:39], v[60:75]// 000000006CD0: D3AE003C 1CF24168
	ds_read_b64_tr_b8 a[88:89], v9 offset:1024                 // 000000006CD8: DBC40400 58000009
	ds_read_b64_tr_b8 a[90:91], v10 offset:1024                // 000000006CE0: DBC40400 5A00000A
	ds_read_b64_tr_b8 a[92:93], v9 offset:19456                // 000000006CE8: DBC44C00 5C000009
	ds_read_b64_tr_b8 a[94:95], v10 offset:19456               // 000000006CF0: DBC44C00 5E00000A
	ds_read_b64_tr_b8 a[96:97], v11 offset:1024                // 000000006CF8: DBC40400 6000000B
	ds_read_b64_tr_b8 a[98:99], v12 offset:1024                // 000000006D00: DBC40400 6200000C
	ds_read_b64_tr_b8 a[100:101], v11 offset:19456             // 000000006D08: DBC44C00 6400000B
	ds_read_b64_tr_b8 a[102:103], v12 offset:19456             // 000000006D10: DBC44C00 6600000C
	v_mul_f32_e32 v120, v21, v120                              // 000000006D18: 0AF0F115
	v_mul_f32_e32 v121, v21, v121                              // 000000006D1C: 0AF2F315
	v_mul_f32_e32 v122, v21, v122                              // 000000006D20: 0AF4F515
	v_mul_f32_e32 v123, v21, v123                              // 000000006D24: 0AF6F715
	v_mul_f32_e32 v124, v21, v124                              // 000000006D28: 0AF8F915
	v_mul_f32_e32 v125, v21, v125                              // 000000006D2C: 0AFAFB15
	v_mul_f32_e32 v126, v21, v126                              // 000000006D30: 0AFCFD15
	v_mul_f32_e32 v127, v21, v127                              // 000000006D34: 0AFEFF15
	v_mul_f32_e32 v128, v21, v128                              // 000000006D38: 0B010115
	v_mul_f32_e32 v129, v21, v129                              // 000000006D3C: 0B030315
	v_mul_f32_e32 v130, v21, v130                              // 000000006D40: 0B050515
	v_mul_f32_e32 v131, v21, v131                              // 000000006D44: 0B070715
	v_mfma_f32_32x32x64_f8f6f4 v[60:75], a[112:119], a[40:47], v[60:75]// 000000006D48: D3AE003C 1CF25170
	s_waitcnt lgkmcnt(0)                                       // 000000006D50: BF8CC07F
	buffer_load_dwordx4 v217, s[20:23], 0 offen offset:384 lds // 000000006D54: E05D1180 800500D9
	s_add_i32 m0, m0, 0x3c0                                    // 000000006D5C: 817CFF7C 000003C0
	v_mul_f32_e32 v132, v21, v132                              // 000000006D64: 0B090915
	v_mul_f32_e32 v133, v21, v133                              // 000000006D68: 0B0B0B15
	v_mul_f32_e32 v134, v21, v134                              // 000000006D6C: 0B0D0D15
	v_mul_f32_e32 v135, v21, v135                              // 000000006D70: 0B0F0F15
	v_mul_f32_e32 v136, v21, v136                              // 000000006D74: 0B111115
	v_mul_f32_e32 v137, v21, v137                              // 000000006D78: 0B131315
	v_mul_f32_e32 v138, v21, v138                              // 000000006D7C: 0B151515
	v_mul_f32_e32 v139, v21, v139                              // 000000006D80: 0B171715
	v_mfma_f32_32x32x64_f8f6f4 v[60:75], a[120:127], a[48:55], v[60:75]// 000000006D84: D3AE003C 1CF26178
	ds_read_b64_tr_b8 a[104:105], v9 offset:2048               // 000000006D8C: DBC40800 68000009
	ds_read_b64_tr_b8 a[106:107], v10 offset:2048              // 000000006D94: DBC40800 6A00000A
	ds_read_b64_tr_b8 a[108:109], v9 offset:20480              // 000000006D9C: DBC45000 6C000009
	ds_read_b64_tr_b8 a[110:111], v10 offset:20480             // 000000006DA4: DBC45000 6E00000A
	ds_read_b64_tr_b8 a[112:113], v11 offset:2048              // 000000006DAC: DBC40800 7000000B
	ds_read_b64_tr_b8 a[114:115], v12 offset:2048              // 000000006DB4: DBC40800 7200000C
	ds_read_b64_tr_b8 a[116:117], v11 offset:20480             // 000000006DBC: DBC45000 7400000B
	ds_read_b64_tr_b8 a[118:119], v12 offset:20480             // 000000006DC4: DBC45000 7600000C
	v_permlane32_swap_b32_e32 v44, v46                         // 000000006DCC: 7E58B52E
	v_permlane32_swap_b32_e32 v45, v47                         // 000000006DD0: 7E5AB52F
	v_swap_b32 v45, v46                                        // 000000006DD4: 7E5AA32E
	v_permlane32_swap_b32_e32 v48, v50                         // 000000006DD8: 7E60B532
	v_permlane32_swap_b32_e32 v49, v51                         // 000000006DDC: 7E62B533
	v_swap_b32 v49, v50                                        // 000000006DE0: 7E62A332
	v_mfma_f32_32x32x64_f8f6f4 v[60:75], a[128:135], a[56:63], v[60:75]// 000000006DE4: D3AE003C 1CF27180
	buffer_load_dwordx4 v217, s[20:23], 0 offen offset:448 lds // 000000006DEC: E05D11C0 800500D9
	s_add_i32 m0, m0, 0x3c0                                    // 000000006DF4: 817CFF7C 000003C0
	v_pk_mul_f32 v[144:145], v[36:37], v[144:145]              // 000000006DFC: D3B14090 18032124
	v_pk_mul_f32 v[146:147], v[36:37], v[146:147]              // 000000006E04: D3B14092 18032524
	v_pk_mul_f32 v[148:149], v[36:37], v[148:149]              // 000000006E0C: D3B14094 18032924
	v_pk_mul_f32 v[150:151], v[36:37], v[150:151]              // 000000006E14: D3B14096 18032D24
	v_pk_mul_f32 v[152:153], v[36:37], v[152:153]              // 000000006E1C: D3B14098 18033124
	v_pk_mul_f32 v[154:155], v[36:37], v[154:155]              // 000000006E24: D3B1409A 18033524
	v_pk_mul_f32 v[156:157], v[36:37], v[156:157]              // 000000006E2C: D3B1409C 18033924
	v_pk_mul_f32 v[158:159], v[36:37], v[158:159]              // 000000006E34: D3B1409E 18033D24
	v_pk_mul_f32 v[160:161], v[36:37], v[160:161]              // 000000006E3C: D3B140A0 18034124
	v_pk_mul_f32 v[162:163], v[36:37], v[162:163]              // 000000006E44: D3B140A2 18034524
	v_pk_mul_f32 v[164:165], v[36:37], v[164:165]              // 000000006E4C: D3B140A4 18034924
	v_pk_mul_f32 v[166:167], v[36:37], v[166:167]              // 000000006E54: D3B140A6 18034D24
	v_pk_mul_f32 v[168:169], v[36:37], v[168:169]              // 000000006E5C: D3B140A8 18035124
	v_pk_mul_f32 v[170:171], v[36:37], v[170:171]              // 000000006E64: D3B140AA 18035524
	v_pk_mul_f32 v[172:173], v[36:37], v[172:173]              // 000000006E6C: D3B140AC 18035924
	v_pk_mul_f32 v[174:175], v[36:37], v[174:175]              // 000000006E74: D3B140AE 18035D24
	v_pk_mul_f32 v[176:177], v[36:37], v[176:177]              // 000000006E7C: D3B140B0 18036124
	v_pk_mul_f32 v[178:179], v[36:37], v[178:179]              // 000000006E84: D3B140B2 18036524
	v_pk_mul_f32 v[180:181], v[36:37], v[180:181]              // 000000006E8C: D3B140B4 18036924
	v_pk_mul_f32 v[182:183], v[36:37], v[182:183]              // 000000006E94: D3B140B6 18036D24
	v_pk_mul_f32 v[184:185], v[36:37], v[184:185]              // 000000006E9C: D3B140B8 18037124
	v_pk_mul_f32 v[186:187], v[36:37], v[186:187]              // 000000006EA4: D3B140BA 18037524
	v_pk_mul_f32 v[188:189], v[36:37], v[188:189]              // 000000006EAC: D3B140BC 18037924
	v_pk_mul_f32 v[190:191], v[36:37], v[190:191]              // 000000006EB4: D3B140BE 18037D24
	v_pk_mul_f32 v[192:193], v[36:37], v[192:193]              // 000000006EBC: D3B140C0 18038124
	v_pk_mul_f32 v[194:195], v[36:37], v[194:195]              // 000000006EC4: D3B140C2 18038524
	v_pk_mul_f32 v[196:197], v[36:37], v[196:197]              // 000000006ECC: D3B140C4 18038924
	v_pk_mul_f32 v[198:199], v[36:37], v[198:199]              // 000000006ED4: D3B140C6 18038D24
	v_pk_mul_f32 v[200:201], v[36:37], v[200:201]              // 000000006EDC: D3B140C8 18039124
	v_pk_mul_f32 v[202:203], v[36:37], v[202:203]              // 000000006EE4: D3B140CA 18039524
	v_mfma_f32_32x32x64_f8f6f4 v[60:75], a[136:143], a[64:71], v[60:75]// 000000006EEC: D3AE003C 1CF28188
	ds_read_b64_tr_b8 a[120:121], v9 offset:3072               // 000000006EF4: DBC40C00 78000009
	ds_read_b64_tr_b8 a[122:123], v10 offset:3072              // 000000006EFC: DBC40C00 7A00000A
	ds_read_b64_tr_b8 a[124:125], v9 offset:21504              // 000000006F04: DBC45400 7C000009
	ds_read_b64_tr_b8 a[126:127], v10 offset:21504             // 000000006F0C: DBC45400 7E00000A
	ds_read_b64_tr_b8 a[128:129], v11 offset:3072              // 000000006F14: DBC40C00 8000000B
	ds_read_b64_tr_b8 a[130:131], v12 offset:3072              // 000000006F1C: DBC40C00 8200000C
	ds_read_b64_tr_b8 a[132:133], v11 offset:21504             // 000000006F24: DBC45400 8400000B
	ds_read_b64_tr_b8 a[134:135], v12 offset:21504             // 000000006F2C: DBC45400 8600000C
	buffer_load_dwordx4 v217, s[20:23], 0 offen offset:512 lds // 000000006F34: E05D1200 800500D9
	s_add_i32 m0, m0, 0x3c0                                    // 000000006F3C: 817CFF7C 000003C0
	s_addk_i32 s70, 0x1                                        // 000000006F44: B7460001
	s_cmp_lt_i32 s70, s71                                      // 000000006F48: BF044746
	s_cbranch_scc0 label_2F74                                  // 000000006F4C: BF84F8C9
	s_branch label_2F80                                        // 000000006F50: BF82F8CB

0000000000006f54 <label_4C54>:
	ds_read_b64_tr_b8 a[72:73], v9                             // 000000006F54: DBC40000 48000009
	ds_read_b64_tr_b8 a[74:75], v10                            // 000000006F5C: DBC40000 4A00000A
	ds_read_b64_tr_b8 a[76:77], v9 offset:18432                // 000000006F64: DBC44800 4C000009
	ds_read_b64_tr_b8 a[78:79], v10 offset:18432               // 000000006F6C: DBC44800 4E00000A
	ds_read_b64_tr_b8 a[80:81], v11                            // 000000006F74: DBC40000 5000000B
	ds_read_b64_tr_b8 a[82:83], v12                            // 000000006F7C: DBC40000 5200000C
	ds_read_b64_tr_b8 a[84:85], v11 offset:18432               // 000000006F84: DBC44800 5400000B
	ds_read_b64_tr_b8 a[86:87], v12 offset:18432               // 000000006F8C: DBC44800 5600000C
	ds_read_b64_tr_b8 a[88:89], v9 offset:1024                 // 000000006F94: DBC40400 58000009
	ds_read_b64_tr_b8 a[90:91], v10 offset:1024                // 000000006F9C: DBC40400 5A00000A
	ds_read_b64_tr_b8 a[92:93], v9 offset:19456                // 000000006FA4: DBC44C00 5C000009
	ds_read_b64_tr_b8 a[94:95], v10 offset:19456               // 000000006FAC: DBC44C00 5E00000A
	ds_read_b64_tr_b8 a[96:97], v11 offset:1024                // 000000006FB4: DBC40400 6000000B
	ds_read_b64_tr_b8 a[98:99], v12 offset:1024                // 000000006FBC: DBC40400 6200000C
	ds_read_b64_tr_b8 a[100:101], v11 offset:19456             // 000000006FC4: DBC44C00 6400000B
	ds_read_b64_tr_b8 a[102:103], v12 offset:19456             // 000000006FCC: DBC44C00 6600000C
	ds_read_b64_tr_b8 a[104:105], v9 offset:2048               // 000000006FD4: DBC40800 68000009
	ds_read_b64_tr_b8 a[106:107], v10 offset:2048              // 000000006FDC: DBC40800 6A00000A
	ds_read_b64_tr_b8 a[108:109], v9 offset:20480              // 000000006FE4: DBC45000 6C000009
	ds_read_b64_tr_b8 a[110:111], v10 offset:20480             // 000000006FEC: DBC45000 6E00000A
	ds_read_b64_tr_b8 a[112:113], v11 offset:2048              // 000000006FF4: DBC40800 7000000B
	ds_read_b64_tr_b8 a[114:115], v12 offset:2048              // 000000006FFC: DBC40800 7200000C
	ds_read_b64_tr_b8 a[116:117], v11 offset:20480             // 000000007004: DBC45000 7400000B
	ds_read_b64_tr_b8 a[118:119], v12 offset:20480             // 00000000700C: DBC45000 7600000C
	ds_read_b64_tr_b8 a[120:121], v9 offset:3072               // 000000007014: DBC40C00 78000009
	ds_read_b64_tr_b8 a[122:123], v10 offset:3072              // 00000000701C: DBC40C00 7A00000A
	ds_read_b64_tr_b8 a[124:125], v9 offset:21504              // 000000007024: DBC45400 7C000009
	ds_read_b64_tr_b8 a[126:127], v10 offset:21504             // 00000000702C: DBC45400 7E00000A
	ds_read_b64_tr_b8 a[128:129], v11 offset:3072              // 000000007034: DBC40C00 8000000B
	ds_read_b64_tr_b8 a[130:131], v12 offset:3072              // 00000000703C: DBC40C00 8200000C
	ds_read_b64_tr_b8 a[132:133], v11 offset:21504             // 000000007044: DBC45400 8400000B
	ds_read_b64_tr_b8 a[134:135], v12 offset:21504             // 00000000704C: DBC45400 8600000C
	s_waitcnt lgkmcnt(4)                                       // 000000007054: BF8CC47F
	v_mfma_f32_32x32x64_f8f6f4 v[76:91], a[72:79], v[44:51], v[76:91]// 000000007058: D3AE004C 0D325948
	ds_read_b128 a[72:75], v26                                 // 000000007060: DBFE0000 4800001A
	ds_read_b128 a[76:79], v27                                 // 000000007068: DBFE0000 4C00001B
	v_mfma_f32_32x32x64_f8f6f4 v[92:107], a[80:87], v[44:51], v[92:107]// 000000007070: D3AE005C 0D725950
	ds_read_b128 a[80:83], v26 offset:1024                     // 000000007078: DBFE0400 5000001A
	ds_read_b128 a[84:87], v27 offset:1024                     // 000000007080: DBFE0400 5400001B
	v_mfma_f32_32x32x64_f8f6f4 v[108:123], a[88:95], v[44:51], v[108:123]// 000000007088: D3AE006C 0DB25958
	ds_read_b128 a[88:91], v26 offset:2048                     // 000000007090: DBFE0800 5800001A
	ds_read_b128 a[92:95], v27 offset:2048                     // 000000007098: DBFE0800 5C00001B
	v_mfma_f32_32x32x64_f8f6f4 v[124:139], a[96:103], v[44:51], v[124:139]// 0000000070A0: D3AE007C 0DF25960
	ds_read_b128 a[96:99], v26 offset:3072                     // 0000000070A8: DBFE0C00 6000001A
	ds_read_b128 a[100:103], v27 offset:3072                   // 0000000070B0: DBFE0C00 6400001B
	v_mfma_f32_32x32x64_f8f6f4 v[140:155], a[104:111], v[44:51], v[140:155]// 0000000070B8: D3AE008C 0E325968
	ds_read_b128 a[104:107], v26 offset:4096                   // 0000000070C0: DBFE1000 6800001A
	ds_read_b128 a[108:111], v27 offset:4096                   // 0000000070C8: DBFE1000 6C00001B
	v_mfma_f32_32x32x64_f8f6f4 v[156:171], a[112:119], v[44:51], v[156:171]// 0000000070D0: D3AE009C 0E725970
	ds_read_b128 a[112:115], v26 offset:5120                   // 0000000070D8: DBFE1400 7000001A
	ds_read_b128 a[116:119], v27 offset:5120                   // 0000000070E0: DBFE1400 7400001B
	v_mfma_f32_32x32x64_f8f6f4 v[172:187], a[120:127], v[44:51], v[172:187]// 0000000070E8: D3AE00AC 0EB25978
	ds_read_b128 a[120:123], v26 offset:6144                   // 0000000070F0: DBFE1800 7800001A
	ds_read_b128 a[124:127], v27 offset:6144                   // 0000000070F8: DBFE1800 7C00001B
	v_mfma_f32_32x32x64_f8f6f4 v[188:203], a[128:135], v[44:51], v[188:203]// 000000007100: D3AE00BC 0EF25980
	ds_read_b128 a[128:131], v26 offset:7168                   // 000000007108: DBFE1C00 8000001A
	ds_read_b128 a[132:135], v27 offset:7168                   // 000000007110: DBFE1C00 8400001B
	ds_read_b128 a[136:139], v26 offset:8192                   // 000000007118: DBFE2000 8800001A
	ds_read_b128 a[140:143], v27 offset:8192                   // 000000007120: DBFE2000 8C00001B
	s_branch label_6C10                                        // 000000007128: BF820779

000000000000712c <label_4E2C>:
	s_and_b32 s56, 3, s71                                      // 00000000712C: 86384783
	s_cmp_eq_i32 s56, 1                                        // 000000007130: BF008138
	s_cbranch_scc1 label_4E50                                  // 000000007134: BF850006
	s_cmp_eq_i32 s56, 2                                        // 000000007138: BF008238
	s_cbranch_scc1 label_55C0                                  // 00000000713C: BF8501E0
	s_cmp_eq_i32 s56, 3                                        // 000000007140: BF008338
	s_cbranch_scc1 label_5D30                                  // 000000007144: BF8503BA
	s_cmp_eq_i32 s56, 0                                        // 000000007148: BF008038
	s_cbranch_scc1 label_64A0                                  // 00000000714C: BF850594

0000000000007150 <label_4E50>:
	s_nop 2                                                    // 000000007150: BF800002
	v_mov_b32_e32 v213, v44                                    // 000000007154: 7FAA032C
	v_max3_f32 v213, v44, v45, v213                            // 000000007158: D1D300D5 07565B2C
	v_max3_f32 v213, v46, v47, v213                            // 000000007160: D1D300D5 07565F2E
	v_max3_f32 v213, v48, v49, v213                            // 000000007168: D1D300D5 07566330
	v_max3_f32 v213, v50, v51, v213                            // 000000007170: D1D300D5 07566732
	v_max3_f32 v213, v52, v53, v213                            // 000000007178: D1D300D5 07566B34
	v_max3_f32 v213, v54, v55, v213                            // 000000007180: D1D300D5 07566F36
	v_max3_f32 v213, v56, v57, v213                            // 000000007188: D1D300D5 07567338
	v_max3_f32 v213, v58, v59, v213                            // 000000007190: D1D300D5 0756773A
	v_mov_b32_e32 v35, v213                                    // 000000007198: 7E4603D5
	v_mov_b32_e32 v36, v213                                    // 00000000719C: 7E4803D5
	s_nop 1                                                    // 0000000071A0: BF800001
	v_permlane32_swap_b32_e32 v35, v36                         // 0000000071A4: 7E46B524
	v_max3_f32 v213, v35, v36, v213                            // 0000000071A8: D1D300D5 07564923
	ds_write_b32 v41, v213                                     // 0000000071B0: D81A0000 0000D529
	s_waitcnt lgkmcnt(0)                                       // 0000000071B8: BF8CC07F
	s_barrier                                                  // 0000000071BC: BF8A0000
	ds_read_b32 v35, v40                                       // 0000000071C0: D86C0000 23000028
	ds_read_b32 v36, v40 offset:256                            // 0000000071C8: D86C0100 24000028
	s_waitcnt lgkmcnt(0)                                       // 0000000071D0: BF8CC07F
	v_max3_f32 v213, v35, v36, v213                            // 0000000071D4: D1D300D5 07564923
	v_mov_b32_e32 v35, 0xff800000                              // 0000000071DC: 7E4602FF FF800000
	v_cmp_eq_u32_e64 s[36:37], v35, v2                         // 0000000071E4: D0CA0024 00020523
	v_max_f32_e32 v216, v213, v2                               // 0000000071EC: 17B005D5
	v_sub_f32_e32 v21, v2, v216                                // 0000000071F0: 042BB102
	v_cndmask_b32_e64 v21, v21, 0, s[36:37]                    // 0000000071F4: D1000015 00910115
	v_mov_b32_e32 v2, v216                                     // 0000000071FC: 7E0403D8
	v_mul_f32_e32 v212, s5, v216                               // 000000007200: 0BA9B005
	v_mul_f32_e32 v21, s5, v21                                 // 000000007204: 0A2A2A05
	v_exp_f32_e32 v21, v21                                     // 000000007208: 7E2A4115
	v_fma_f32 v44, v44, s5, -v212                              // 00000000720C: D1CB002C 87500B2C
	v_fma_f32 v45, v45, s5, -v212                              // 000000007214: D1CB002D 87500B2D
	v_fma_f32 v46, v46, s5, -v212                              // 00000000721C: D1CB002E 87500B2E
	v_fma_f32 v47, v47, s5, -v212                              // 000000007224: D1CB002F 87500B2F
	v_fma_f32 v48, v48, s5, -v212                              // 00000000722C: D1CB0030 87500B30
	v_fma_f32 v49, v49, s5, -v212                              // 000000007234: D1CB0031 87500B31
	v_fma_f32 v50, v50, s5, -v212                              // 00000000723C: D1CB0032 87500B32
	v_fma_f32 v51, v51, s5, -v212                              // 000000007244: D1CB0033 87500B33
	v_fma_f32 v52, v52, s5, -v212                              // 00000000724C: D1CB0034 87500B34
	v_fma_f32 v53, v53, s5, -v212                              // 000000007254: D1CB0035 87500B35
	v_fma_f32 v54, v54, s5, -v212                              // 00000000725C: D1CB0036 87500B36
	v_fma_f32 v55, v55, s5, -v212                              // 000000007264: D1CB0037 87500B37
	v_fma_f32 v56, v56, s5, -v212                              // 00000000726C: D1CB0038 87500B38
	v_fma_f32 v57, v57, s5, -v212                              // 000000007274: D1CB0039 87500B39
	v_fma_f32 v58, v58, s5, -v212                              // 00000000727C: D1CB003A 87500B3A
	v_fma_f32 v59, v59, s5, -v212                              // 000000007284: D1CB003B 87500B3B
	v_mov_b32_e32 v35, 0xffc00000                              // 00000000728C: 7E4602FF FFC00000
	v_exp_f32_e32 v44, v44                                     // 000000007294: 7E58412C
	v_exp_f32_e32 v45, v45                                     // 000000007298: 7E5A412D
	v_exp_f32_e32 v46, v46                                     // 00000000729C: 7E5C412E
	v_exp_f32_e32 v47, v47                                     // 0000000072A0: 7E5E412F
	v_exp_f32_e32 v48, v48                                     // 0000000072A4: 7E604130
	v_exp_f32_e32 v49, v49                                     // 0000000072A8: 7E624131
	v_exp_f32_e32 v50, v50                                     // 0000000072AC: 7E644132
	v_exp_f32_e32 v51, v51                                     // 0000000072B0: 7E664133
	v_exp_f32_e32 v52, v52                                     // 0000000072B4: 7E684134
	v_exp_f32_e32 v53, v53                                     // 0000000072B8: 7E6A4135
	v_exp_f32_e32 v54, v54                                     // 0000000072BC: 7E6C4136
	v_exp_f32_e32 v55, v55                                     // 0000000072C0: 7E6E4137
	v_exp_f32_e32 v56, v56                                     // 0000000072C4: 7E704138
	v_exp_f32_e32 v57, v57                                     // 0000000072C8: 7E724139
	v_exp_f32_e32 v58, v58                                     // 0000000072CC: 7E74413A
	v_exp_f32_e32 v59, v59                                     // 0000000072D0: 7E76413B
	v_mul_f32_e32 v4, v21, v4                                  // 0000000072D4: 0A080915
	v_mov_b32_e32 v35, v44                                     // 0000000072D8: 7E46032C
	v_add_f32_e32 v35, v45, v35                                // 0000000072DC: 0246472D
	v_add_f32_e32 v35, v46, v35                                // 0000000072E0: 0246472E
	v_add_f32_e32 v35, v47, v35                                // 0000000072E4: 0246472F
	v_add_f32_e32 v35, v48, v35                                // 0000000072E8: 02464730
	v_add_f32_e32 v35, v49, v35                                // 0000000072EC: 02464731
	v_add_f32_e32 v35, v50, v35                                // 0000000072F0: 02464732
	v_add_f32_e32 v35, v51, v35                                // 0000000072F4: 02464733
	v_add_f32_e32 v35, v52, v35                                // 0000000072F8: 02464734
	v_add_f32_e32 v35, v53, v35                                // 0000000072FC: 02464735
	v_add_f32_e32 v35, v54, v35                                // 000000007300: 02464736
	v_add_f32_e32 v35, v55, v35                                // 000000007304: 02464737
	;; [unrolled: 1-line block ×3, first 2 shown]
	v_add_f32_e32 v35, v57, v35                                // 00000000730C: 02464739
	v_add_f32_e32 v35, v58, v35                                // 000000007310: 0246473A
	v_add_f32_e32 v35, v59, v35                                // 000000007314: 0246473B
	v_add_f32_e32 v4, v35, v4                                  // 000000007318: 02080923
	v_cvt_pk_fp8_f32 v44, v44, v45                             // 00000000731C: D2A2002C 00025B2C
	v_cvt_pk_fp8_f32 v44, v46, v47 op_sel:[0,0,1]              // 000000007324: D2A2402C 00025F2E
	v_cvt_pk_fp8_f32 v45, v48, v49                             // 00000000732C: D2A2002D 00026330
	v_cvt_pk_fp8_f32 v45, v50, v51 op_sel:[0,0,1]              // 000000007334: D2A2402D 00026732
	v_cvt_pk_fp8_f32 v46, v52, v53                             // 00000000733C: D2A2002E 00026B34
	v_cvt_pk_fp8_f32 v46, v54, v55 op_sel:[0,0,1]              // 000000007344: D2A2402E 00026F36
	v_cvt_pk_fp8_f32 v47, v56, v57                             // 00000000734C: D2A2002F 00027338
	v_cvt_pk_fp8_f32 v47, v58, v59 op_sel:[0,0,1]              // 000000007354: D2A2402F 0002773A
	ds_write_b128 v43, v[44:47] offset:1024                    // 00000000735C: D9BE0400 00002C2B
	s_waitcnt lgkmcnt(0)                                       // 000000007364: BF8CC07F
	s_barrier                                                  // 000000007368: BF8A0000
	ds_read_b128 v[44:47], v42 offset:1024                     // 00000000736C: D9FE0400 2C00002A
	ds_read_b128 v[48:51], v42 offset:2048                     // 000000007374: D9FE0800 3000002A
	s_waitcnt lgkmcnt(0)                                       // 00000000737C: BF8CC07F
	v_permlane32_swap_b32_e32 v44, v46                         // 000000007380: 7E58B52E
	v_permlane32_swap_b32_e32 v45, v47                         // 000000007384: 7E5AB52F
	v_swap_b32 v45, v46                                        // 000000007388: 7E5AA32E
	v_permlane32_swap_b32_e32 v48, v50                         // 00000000738C: 7E60B532
	v_permlane32_swap_b32_e32 v49, v51                         // 000000007390: 7E62B533
	v_swap_b32 v49, v50                                        // 000000007394: 7E62A332
	ds_read_b64_tr_b8 a[72:73], v5                             // 000000007398: DBC40000 48000005
	ds_read_b64_tr_b8 a[74:75], v6                             // 0000000073A0: DBC40000 4A000006
	ds_read_b64_tr_b8 a[76:77], v5 offset:18432                // 0000000073A8: DBC44800 4C000005
	ds_read_b64_tr_b8 a[78:79], v6 offset:18432                // 0000000073B0: DBC44800 4E000006
	ds_read_b64_tr_b8 a[80:81], v7                             // 0000000073B8: DBC40000 50000007
	ds_read_b64_tr_b8 a[82:83], v8                             // 0000000073C0: DBC40000 52000008
	ds_read_b64_tr_b8 a[84:85], v7 offset:18432                // 0000000073C8: DBC44800 54000007
	ds_read_b64_tr_b8 a[86:87], v8 offset:18432                // 0000000073D0: DBC44800 56000008
	ds_read_b64_tr_b8 a[88:89], v5 offset:1024                 // 0000000073D8: DBC40400 58000005
	ds_read_b64_tr_b8 a[90:91], v6 offset:1024                 // 0000000073E0: DBC40400 5A000006
	ds_read_b64_tr_b8 a[92:93], v5 offset:19456                // 0000000073E8: DBC44C00 5C000005
	ds_read_b64_tr_b8 a[94:95], v6 offset:19456                // 0000000073F0: DBC44C00 5E000006
	ds_read_b64_tr_b8 a[96:97], v7 offset:1024                 // 0000000073F8: DBC40400 60000007
	ds_read_b64_tr_b8 a[98:99], v8 offset:1024                 // 000000007400: DBC40400 62000008
	ds_read_b64_tr_b8 a[100:101], v7 offset:19456              // 000000007408: DBC44C00 64000007
	ds_read_b64_tr_b8 a[102:103], v8 offset:19456              // 000000007410: DBC44C00 66000008
	ds_read_b64_tr_b8 a[104:105], v5 offset:2048               // 000000007418: DBC40800 68000005
	ds_read_b64_tr_b8 a[106:107], v6 offset:2048               // 000000007420: DBC40800 6A000006
	ds_read_b64_tr_b8 a[108:109], v5 offset:20480              // 000000007428: DBC45000 6C000005
	ds_read_b64_tr_b8 a[110:111], v6 offset:20480              // 000000007430: DBC45000 6E000006
	ds_read_b64_tr_b8 a[112:113], v7 offset:2048               // 000000007438: DBC40800 70000007
	ds_read_b64_tr_b8 a[114:115], v8 offset:2048               // 000000007440: DBC40800 72000008
	ds_read_b64_tr_b8 a[116:117], v7 offset:20480              // 000000007448: DBC45000 74000007
	ds_read_b64_tr_b8 a[118:119], v8 offset:20480              // 000000007450: DBC45000 76000008
	ds_read_b64_tr_b8 a[120:121], v5 offset:3072               // 000000007458: DBC40C00 78000005
	ds_read_b64_tr_b8 a[122:123], v6 offset:3072               // 000000007460: DBC40C00 7A000006
	ds_read_b64_tr_b8 a[124:125], v5 offset:21504              // 000000007468: DBC45400 7C000005
	ds_read_b64_tr_b8 a[126:127], v6 offset:21504              // 000000007470: DBC45400 7E000006
	ds_read_b64_tr_b8 a[128:129], v7 offset:3072               // 000000007478: DBC40C00 80000007
	ds_read_b64_tr_b8 a[130:131], v8 offset:3072               // 000000007480: DBC40C00 82000008
	ds_read_b64_tr_b8 a[132:133], v7 offset:21504              // 000000007488: DBC45400 84000007
	ds_read_b64_tr_b8 a[134:135], v8 offset:21504              // 000000007490: DBC45400 86000008
	s_waitcnt lgkmcnt(4)                                       // 000000007498: BF8CC47F
	v_mfma_f32_32x32x64_f8f6f4 v[76:91], a[72:79], v[60:67], v[76:91]// 00000000749C: D3AE004C 0D327948
	ds_read_b64_tr_b8 a[72:73], v9                             // 0000000074A4: DBC40000 48000009
	ds_read_b64_tr_b8 a[74:75], v10                            // 0000000074AC: DBC40000 4A00000A
	ds_read_b64_tr_b8 a[76:77], v9 offset:18432                // 0000000074B4: DBC44800 4C000009
	ds_read_b64_tr_b8 a[78:79], v10 offset:18432               // 0000000074BC: DBC44800 4E00000A
	v_mfma_f32_32x32x64_f8f6f4 v[92:107], a[80:87], v[60:67], v[92:107]// 0000000074C4: D3AE005C 0D727950
	ds_read_b64_tr_b8 a[80:81], v11                            // 0000000074CC: DBC40000 5000000B
	ds_read_b64_tr_b8 a[82:83], v12                            // 0000000074D4: DBC40000 5200000C
	ds_read_b64_tr_b8 a[84:85], v11 offset:18432               // 0000000074DC: DBC44800 5400000B
	ds_read_b64_tr_b8 a[86:87], v12 offset:18432               // 0000000074E4: DBC44800 5600000C
	v_mfma_f32_32x32x64_f8f6f4 v[108:123], a[88:95], v[60:67], v[108:123]// 0000000074EC: D3AE006C 0DB27958
	ds_read_b64_tr_b8 a[88:89], v9 offset:1024                 // 0000000074F4: DBC40400 58000009
	ds_read_b64_tr_b8 a[90:91], v10 offset:1024                // 0000000074FC: DBC40400 5A00000A
	ds_read_b64_tr_b8 a[92:93], v9 offset:19456                // 000000007504: DBC44C00 5C000009
	ds_read_b64_tr_b8 a[94:95], v10 offset:19456               // 00000000750C: DBC44C00 5E00000A
	v_mfma_f32_32x32x64_f8f6f4 v[124:139], a[96:103], v[60:67], v[124:139]// 000000007514: D3AE007C 0DF27960
	ds_read_b64_tr_b8 a[96:97], v11 offset:1024                // 00000000751C: DBC40400 6000000B
	ds_read_b64_tr_b8 a[98:99], v12 offset:1024                // 000000007524: DBC40400 6200000C
	ds_read_b64_tr_b8 a[100:101], v11 offset:19456             // 00000000752C: DBC44C00 6400000B
	ds_read_b64_tr_b8 a[102:103], v12 offset:19456             // 000000007534: DBC44C00 6600000C
	v_mfma_f32_32x32x64_f8f6f4 v[140:155], a[104:111], v[60:67], v[140:155]// 00000000753C: D3AE008C 0E327968
	ds_read_b64_tr_b8 a[104:105], v9 offset:2048               // 000000007544: DBC40800 68000009
	ds_read_b64_tr_b8 a[106:107], v10 offset:2048              // 00000000754C: DBC40800 6A00000A
	ds_read_b64_tr_b8 a[108:109], v9 offset:20480              // 000000007554: DBC45000 6C000009
	ds_read_b64_tr_b8 a[110:111], v10 offset:20480             // 00000000755C: DBC45000 6E00000A
	v_mfma_f32_32x32x64_f8f6f4 v[156:171], a[112:119], v[60:67], v[156:171]// 000000007564: D3AE009C 0E727970
	ds_read_b64_tr_b8 a[112:113], v11 offset:2048              // 00000000756C: DBC40800 7000000B
	ds_read_b64_tr_b8 a[114:115], v12 offset:2048              // 000000007574: DBC40800 7200000C
	ds_read_b64_tr_b8 a[116:117], v11 offset:20480             // 00000000757C: DBC45000 7400000B
	ds_read_b64_tr_b8 a[118:119], v12 offset:20480             // 000000007584: DBC45000 7600000C
	v_mfma_f32_32x32x64_f8f6f4 v[172:187], a[120:127], v[60:67], v[172:187]// 00000000758C: D3AE00AC 0EB27978
	ds_read_b64_tr_b8 a[120:121], v9 offset:3072               // 000000007594: DBC40C00 78000009
	ds_read_b64_tr_b8 a[122:123], v10 offset:3072              // 00000000759C: DBC40C00 7A00000A
	ds_read_b64_tr_b8 a[124:125], v9 offset:21504              // 0000000075A4: DBC45400 7C000009
	ds_read_b64_tr_b8 a[126:127], v10 offset:21504             // 0000000075AC: DBC45400 7E00000A
	v_mfma_f32_32x32x64_f8f6f4 v[188:203], a[128:135], v[60:67], v[188:203]// 0000000075B4: D3AE00BC 0EF27980
	ds_read_b64_tr_b8 a[128:129], v11 offset:3072              // 0000000075BC: DBC40C00 8000000B
	ds_read_b64_tr_b8 a[130:131], v12 offset:3072              // 0000000075C4: DBC40C00 8200000C
	ds_read_b64_tr_b8 a[132:133], v11 offset:21504             // 0000000075CC: DBC45400 8400000B
	ds_read_b64_tr_b8 a[134:135], v12 offset:21504             // 0000000075D4: DBC45400 8600000C
	v_mov_b32_e32 v36, v21                                     // 0000000075DC: 7E480315
	v_mov_b32_e32 v37, v21                                     // 0000000075E0: 7E4A0315
	v_pk_mul_f32 v[76:77], v[36:37], v[76:77]                  // 0000000075E4: D3B1404C 18029924
	v_pk_mul_f32 v[78:79], v[36:37], v[78:79]                  // 0000000075EC: D3B1404E 18029D24
	v_pk_mul_f32 v[80:81], v[36:37], v[80:81]                  // 0000000075F4: D3B14050 1802A124
	v_pk_mul_f32 v[82:83], v[36:37], v[82:83]                  // 0000000075FC: D3B14052 1802A524
	v_pk_mul_f32 v[84:85], v[36:37], v[84:85]                  // 000000007604: D3B14054 1802A924
	v_pk_mul_f32 v[86:87], v[36:37], v[86:87]                  // 00000000760C: D3B14056 1802AD24
	v_pk_mul_f32 v[88:89], v[36:37], v[88:89]                  // 000000007614: D3B14058 1802B124
	v_pk_mul_f32 v[90:91], v[36:37], v[90:91]                  // 00000000761C: D3B1405A 1802B524
	v_pk_mul_f32 v[92:93], v[36:37], v[92:93]                  // 000000007624: D3B1405C 1802B924
	v_pk_mul_f32 v[94:95], v[36:37], v[94:95]                  // 00000000762C: D3B1405E 1802BD24
	v_pk_mul_f32 v[96:97], v[36:37], v[96:97]                  // 000000007634: D3B14060 1802C124
	v_pk_mul_f32 v[98:99], v[36:37], v[98:99]                  // 00000000763C: D3B14062 1802C524
	v_pk_mul_f32 v[100:101], v[36:37], v[100:101]              // 000000007644: D3B14064 1802C924
	v_pk_mul_f32 v[102:103], v[36:37], v[102:103]              // 00000000764C: D3B14066 1802CD24
	v_pk_mul_f32 v[104:105], v[36:37], v[104:105]              // 000000007654: D3B14068 1802D124
	v_pk_mul_f32 v[106:107], v[36:37], v[106:107]              // 00000000765C: D3B1406A 1802D524
	v_pk_mul_f32 v[108:109], v[36:37], v[108:109]              // 000000007664: D3B1406C 1802D924
	v_pk_mul_f32 v[110:111], v[36:37], v[110:111]              // 00000000766C: D3B1406E 1802DD24
	v_pk_mul_f32 v[112:113], v[36:37], v[112:113]              // 000000007674: D3B14070 1802E124
	v_pk_mul_f32 v[114:115], v[36:37], v[114:115]              // 00000000767C: D3B14072 1802E524
	v_pk_mul_f32 v[116:117], v[36:37], v[116:117]              // 000000007684: D3B14074 1802E924
	v_pk_mul_f32 v[118:119], v[36:37], v[118:119]              // 00000000768C: D3B14076 1802ED24
	v_pk_mul_f32 v[120:121], v[36:37], v[120:121]              // 000000007694: D3B14078 1802F124
	v_pk_mul_f32 v[122:123], v[36:37], v[122:123]              // 00000000769C: D3B1407A 1802F524
	v_pk_mul_f32 v[124:125], v[36:37], v[124:125]              // 0000000076A4: D3B1407C 1802F924
	v_pk_mul_f32 v[126:127], v[36:37], v[126:127]              // 0000000076AC: D3B1407E 1802FD24
	v_pk_mul_f32 v[128:129], v[36:37], v[128:129]              // 0000000076B4: D3B14080 18030124
	v_pk_mul_f32 v[130:131], v[36:37], v[130:131]              // 0000000076BC: D3B14082 18030524
	v_pk_mul_f32 v[132:133], v[36:37], v[132:133]              // 0000000076C4: D3B14084 18030924
	v_pk_mul_f32 v[134:135], v[36:37], v[134:135]              // 0000000076CC: D3B14086 18030D24
	v_pk_mul_f32 v[136:137], v[36:37], v[136:137]              // 0000000076D4: D3B14088 18031124
	v_pk_mul_f32 v[138:139], v[36:37], v[138:139]              // 0000000076DC: D3B1408A 18031524
	v_pk_mul_f32 v[140:141], v[36:37], v[140:141]              // 0000000076E4: D3B1408C 18031924
	v_pk_mul_f32 v[142:143], v[36:37], v[142:143]              // 0000000076EC: D3B1408E 18031D24
	v_pk_mul_f32 v[144:145], v[36:37], v[144:145]              // 0000000076F4: D3B14090 18032124
	v_pk_mul_f32 v[146:147], v[36:37], v[146:147]              // 0000000076FC: D3B14092 18032524
	v_pk_mul_f32 v[148:149], v[36:37], v[148:149]              // 000000007704: D3B14094 18032924
	v_pk_mul_f32 v[150:151], v[36:37], v[150:151]              // 00000000770C: D3B14096 18032D24
	v_pk_mul_f32 v[152:153], v[36:37], v[152:153]              // 000000007714: D3B14098 18033124
	v_pk_mul_f32 v[154:155], v[36:37], v[154:155]              // 00000000771C: D3B1409A 18033524
	v_pk_mul_f32 v[156:157], v[36:37], v[156:157]              // 000000007724: D3B1409C 18033924
	v_pk_mul_f32 v[158:159], v[36:37], v[158:159]              // 00000000772C: D3B1409E 18033D24
	v_pk_mul_f32 v[160:161], v[36:37], v[160:161]              // 000000007734: D3B140A0 18034124
	v_pk_mul_f32 v[162:163], v[36:37], v[162:163]              // 00000000773C: D3B140A2 18034524
	v_pk_mul_f32 v[164:165], v[36:37], v[164:165]              // 000000007744: D3B140A4 18034924
	v_pk_mul_f32 v[166:167], v[36:37], v[166:167]              // 00000000774C: D3B140A6 18034D24
	v_pk_mul_f32 v[168:169], v[36:37], v[168:169]              // 000000007754: D3B140A8 18035124
	v_pk_mul_f32 v[170:171], v[36:37], v[170:171]              // 00000000775C: D3B140AA 18035524
	v_pk_mul_f32 v[172:173], v[36:37], v[172:173]              // 000000007764: D3B140AC 18035924
	v_pk_mul_f32 v[174:175], v[36:37], v[174:175]              // 00000000776C: D3B140AE 18035D24
	v_pk_mul_f32 v[176:177], v[36:37], v[176:177]              // 000000007774: D3B140B0 18036124
	v_pk_mul_f32 v[178:179], v[36:37], v[178:179]              // 00000000777C: D3B140B2 18036524
	v_pk_mul_f32 v[180:181], v[36:37], v[180:181]              // 000000007784: D3B140B4 18036924
	v_pk_mul_f32 v[182:183], v[36:37], v[182:183]              // 00000000778C: D3B140B6 18036D24
	v_pk_mul_f32 v[184:185], v[36:37], v[184:185]              // 000000007794: D3B140B8 18037124
	v_pk_mul_f32 v[186:187], v[36:37], v[186:187]              // 00000000779C: D3B140BA 18037524
	v_pk_mul_f32 v[188:189], v[36:37], v[188:189]              // 0000000077A4: D3B140BC 18037924
	v_pk_mul_f32 v[190:191], v[36:37], v[190:191]              // 0000000077AC: D3B140BE 18037D24
	v_pk_mul_f32 v[192:193], v[36:37], v[192:193]              // 0000000077B4: D3B140C0 18038124
	v_pk_mul_f32 v[194:195], v[36:37], v[194:195]              // 0000000077BC: D3B140C2 18038524
	v_pk_mul_f32 v[196:197], v[36:37], v[196:197]              // 0000000077C4: D3B140C4 18038924
	v_pk_mul_f32 v[198:199], v[36:37], v[198:199]              // 0000000077CC: D3B140C6 18038D24
	v_pk_mul_f32 v[200:201], v[36:37], v[200:201]              // 0000000077D4: D3B140C8 18039124
	v_pk_mul_f32 v[202:203], v[36:37], v[202:203]              // 0000000077DC: D3B140CA 18039524
	s_waitcnt vmcnt(0)                                         // 0000000077E4: BF8C0F70
	s_barrier                                                  // 0000000077E8: BF8A0000
	v_mfma_f32_32x32x64_f8f6f4 v[76:91], a[72:79], v[44:51], v[76:91]// 0000000077EC: D3AE004C 0D325948
	ds_read_b128 a[72:75], v26                                 // 0000000077F4: DBFE0000 4800001A
	ds_read_b128 a[76:79], v27                                 // 0000000077FC: DBFE0000 4C00001B
	v_mfma_f32_32x32x64_f8f6f4 v[92:107], a[80:87], v[44:51], v[92:107]// 000000007804: D3AE005C 0D725950
	ds_read_b128 a[80:83], v26 offset:1024                     // 00000000780C: DBFE0400 5000001A
	ds_read_b128 a[84:87], v27 offset:1024                     // 000000007814: DBFE0400 5400001B
	v_mfma_f32_32x32x64_f8f6f4 v[108:123], a[88:95], v[44:51], v[108:123]// 00000000781C: D3AE006C 0DB25958
	ds_read_b128 a[88:91], v26 offset:2048                     // 000000007824: DBFE0800 5800001A
	ds_read_b128 a[92:95], v27 offset:2048                     // 00000000782C: DBFE0800 5C00001B
	v_mfma_f32_32x32x64_f8f6f4 v[124:139], a[96:103], v[44:51], v[124:139]// 000000007834: D3AE007C 0DF25960
	ds_read_b128 a[96:99], v26 offset:3072                     // 00000000783C: DBFE0C00 6000001A
	ds_read_b128 a[100:103], v27 offset:3072                   // 000000007844: DBFE0C00 6400001B
	v_mfma_f32_32x32x64_f8f6f4 v[140:155], a[104:111], v[44:51], v[140:155]// 00000000784C: D3AE008C 0E325968
	ds_read_b128 a[104:107], v26 offset:4096                   // 000000007854: DBFE1000 6800001A
	ds_read_b128 a[108:111], v27 offset:4096                   // 00000000785C: DBFE1000 6C00001B
	v_mfma_f32_32x32x64_f8f6f4 v[156:171], a[112:119], v[44:51], v[156:171]// 000000007864: D3AE009C 0E725970
	ds_read_b128 a[112:115], v26 offset:5120                   // 00000000786C: DBFE1400 7000001A
	ds_read_b128 a[116:119], v27 offset:5120                   // 000000007874: DBFE1400 7400001B
	v_mfma_f32_32x32x64_f8f6f4 v[172:187], a[120:127], v[44:51], v[172:187]// 00000000787C: D3AE00AC 0EB25978
	ds_read_b128 a[120:123], v26 offset:6144                   // 000000007884: DBFE1800 7800001A
	ds_read_b128 a[124:127], v27 offset:6144                   // 00000000788C: DBFE1800 7C00001B
	v_mfma_f32_32x32x64_f8f6f4 v[188:203], a[128:135], v[44:51], v[188:203]// 000000007894: D3AE00BC 0EF25980
	ds_read_b128 a[128:131], v26 offset:7168                   // 00000000789C: DBFE1C00 8000001A
	ds_read_b128 a[132:135], v27 offset:7168                   // 0000000078A4: DBFE1C00 8400001B
	ds_read_b128 a[136:139], v26 offset:8192                   // 0000000078AC: DBFE2000 8800001A
	ds_read_b128 a[140:143], v27 offset:8192                   // 0000000078B4: DBFE2000 8C00001B
	s_branch label_6C10                                        // 0000000078BC: BF820594

00000000000078c0 <label_55C0>:
	s_nop 2                                                    // 0000000078C0: BF800002
	v_mov_b32_e32 v213, v60                                    // 0000000078C4: 7FAA033C
	v_max3_f32 v213, v60, v61, v213                            // 0000000078C8: D1D300D5 07567B3C
	v_max3_f32 v213, v62, v63, v213                            // 0000000078D0: D1D300D5 07567F3E
	v_max3_f32 v213, v64, v65, v213                            // 0000000078D8: D1D300D5 07568340
	v_max3_f32 v213, v66, v67, v213                            // 0000000078E0: D1D300D5 07568742
	v_max3_f32 v213, v68, v69, v213                            // 0000000078E8: D1D300D5 07568B44
	v_max3_f32 v213, v70, v71, v213                            // 0000000078F0: D1D300D5 07568F46
	v_max3_f32 v213, v72, v73, v213                            // 0000000078F8: D1D300D5 07569348
	v_max3_f32 v213, v74, v75, v213                            // 000000007900: D1D300D5 0756974A
	v_mov_b32_e32 v35, v213                                    // 000000007908: 7E4603D5
	v_mov_b32_e32 v36, v213                                    // 00000000790C: 7E4803D5
	s_nop 1                                                    // 000000007910: BF800001
	v_permlane32_swap_b32_e32 v35, v36                         // 000000007914: 7E46B524
	v_max3_f32 v213, v35, v36, v213                            // 000000007918: D1D300D5 07564923
	ds_write_b32 v41, v213                                     // 000000007920: D81A0000 0000D529
	s_waitcnt lgkmcnt(0)                                       // 000000007928: BF8CC07F
	s_barrier                                                  // 00000000792C: BF8A0000
	ds_read_b32 v35, v40                                       // 000000007930: D86C0000 23000028
	ds_read_b32 v36, v40 offset:256                            // 000000007938: D86C0100 24000028
	s_waitcnt lgkmcnt(0)                                       // 000000007940: BF8CC07F
	v_max3_f32 v213, v35, v36, v213                            // 000000007944: D1D300D5 07564923
	v_mov_b32_e32 v35, 0xff800000                              // 00000000794C: 7E4602FF FF800000
	v_cmp_eq_u32_e64 s[36:37], v35, v2                         // 000000007954: D0CA0024 00020523
	v_max_f32_e32 v216, v213, v2                               // 00000000795C: 17B005D5
	v_sub_f32_e32 v21, v2, v216                                // 000000007960: 042BB102
	v_cndmask_b32_e64 v21, v21, 0, s[36:37]                    // 000000007964: D1000015 00910115
	v_mov_b32_e32 v2, v216                                     // 00000000796C: 7E0403D8
	v_mul_f32_e32 v212, s5, v216                               // 000000007970: 0BA9B005
	v_mul_f32_e32 v21, s5, v21                                 // 000000007974: 0A2A2A05
	v_exp_f32_e32 v21, v21                                     // 000000007978: 7E2A4115
	v_fma_f32 v60, v60, s5, -v212                              // 00000000797C: D1CB003C 87500B3C
	v_fma_f32 v61, v61, s5, -v212                              // 000000007984: D1CB003D 87500B3D
	v_fma_f32 v62, v62, s5, -v212                              // 00000000798C: D1CB003E 87500B3E
	v_fma_f32 v63, v63, s5, -v212                              // 000000007994: D1CB003F 87500B3F
	v_fma_f32 v64, v64, s5, -v212                              // 00000000799C: D1CB0040 87500B40
	v_fma_f32 v65, v65, s5, -v212                              // 0000000079A4: D1CB0041 87500B41
	v_fma_f32 v66, v66, s5, -v212                              // 0000000079AC: D1CB0042 87500B42
	v_fma_f32 v67, v67, s5, -v212                              // 0000000079B4: D1CB0043 87500B43
	v_fma_f32 v68, v68, s5, -v212                              // 0000000079BC: D1CB0044 87500B44
	v_fma_f32 v69, v69, s5, -v212                              // 0000000079C4: D1CB0045 87500B45
	v_fma_f32 v70, v70, s5, -v212                              // 0000000079CC: D1CB0046 87500B46
	v_fma_f32 v71, v71, s5, -v212                              // 0000000079D4: D1CB0047 87500B47
	v_fma_f32 v72, v72, s5, -v212                              // 0000000079DC: D1CB0048 87500B48
	v_fma_f32 v73, v73, s5, -v212                              // 0000000079E4: D1CB0049 87500B49
	v_fma_f32 v74, v74, s5, -v212                              // 0000000079EC: D1CB004A 87500B4A
	v_fma_f32 v75, v75, s5, -v212                              // 0000000079F4: D1CB004B 87500B4B
	v_mov_b32_e32 v35, 0xffc00000                              // 0000000079FC: 7E4602FF FFC00000
	v_exp_f32_e32 v60, v60                                     // 000000007A04: 7E78413C
	v_exp_f32_e32 v61, v61                                     // 000000007A08: 7E7A413D
	v_exp_f32_e32 v62, v62                                     // 000000007A0C: 7E7C413E
	v_exp_f32_e32 v63, v63                                     // 000000007A10: 7E7E413F
	v_exp_f32_e32 v64, v64                                     // 000000007A14: 7E804140
	v_exp_f32_e32 v65, v65                                     // 000000007A18: 7E824141
	v_exp_f32_e32 v66, v66                                     // 000000007A1C: 7E844142
	v_exp_f32_e32 v67, v67                                     // 000000007A20: 7E864143
	v_exp_f32_e32 v68, v68                                     // 000000007A24: 7E884144
	v_exp_f32_e32 v69, v69                                     // 000000007A28: 7E8A4145
	v_exp_f32_e32 v70, v70                                     // 000000007A2C: 7E8C4146
	v_exp_f32_e32 v71, v71                                     // 000000007A30: 7E8E4147
	v_exp_f32_e32 v72, v72                                     // 000000007A34: 7E904148
	v_exp_f32_e32 v73, v73                                     // 000000007A38: 7E924149
	v_exp_f32_e32 v74, v74                                     // 000000007A3C: 7E94414A
	v_exp_f32_e32 v75, v75                                     // 000000007A40: 7E96414B
	v_mul_f32_e32 v4, v21, v4                                  // 000000007A44: 0A080915
	v_mov_b32_e32 v35, v60                                     // 000000007A48: 7E46033C
	v_add_f32_e32 v35, v61, v35                                // 000000007A4C: 0246473D
	v_add_f32_e32 v35, v62, v35                                // 000000007A50: 0246473E
	v_add_f32_e32 v35, v63, v35                                // 000000007A54: 0246473F
	v_add_f32_e32 v35, v64, v35                                // 000000007A58: 02464740
	v_add_f32_e32 v35, v65, v35                                // 000000007A5C: 02464741
	v_add_f32_e32 v35, v66, v35                                // 000000007A60: 02464742
	v_add_f32_e32 v35, v67, v35                                // 000000007A64: 02464743
	v_add_f32_e32 v35, v68, v35                                // 000000007A68: 02464744
	v_add_f32_e32 v35, v69, v35                                // 000000007A6C: 02464745
	v_add_f32_e32 v35, v70, v35                                // 000000007A70: 02464746
	v_add_f32_e32 v35, v71, v35                                // 000000007A74: 02464747
	v_add_f32_e32 v35, v72, v35                                // 000000007A78: 02464748
	v_add_f32_e32 v35, v73, v35                                // 000000007A7C: 02464749
	v_add_f32_e32 v35, v74, v35                                // 000000007A80: 0246474A
	v_add_f32_e32 v35, v75, v35                                // 000000007A84: 0246474B
	v_add_f32_e32 v4, v35, v4                                  // 000000007A88: 02080923
	v_cvt_pk_fp8_f32 v60, v60, v61                             // 000000007A8C: D2A2003C 00027B3C
	v_cvt_pk_fp8_f32 v60, v62, v63 op_sel:[0,0,1]              // 000000007A94: D2A2403C 00027F3E
	v_cvt_pk_fp8_f32 v61, v64, v65                             // 000000007A9C: D2A2003D 00028340
	v_cvt_pk_fp8_f32 v61, v66, v67 op_sel:[0,0,1]              // 000000007AA4: D2A2403D 00028742
	v_cvt_pk_fp8_f32 v62, v68, v69                             // 000000007AAC: D2A2003E 00028B44
	v_cvt_pk_fp8_f32 v62, v70, v71 op_sel:[0,0,1]              // 000000007AB4: D2A2403E 00028F46
	v_cvt_pk_fp8_f32 v63, v72, v73                             // 000000007ABC: D2A2003F 00029348
	v_cvt_pk_fp8_f32 v63, v74, v75 op_sel:[0,0,1]              // 000000007AC4: D2A2403F 0002974A
	ds_write_b128 v43, v[60:63] offset:1024                    // 000000007ACC: D9BE0400 00003C2B
	s_waitcnt lgkmcnt(0)                                       // 000000007AD4: BF8CC07F
	s_barrier                                                  // 000000007AD8: BF8A0000
	ds_read_b128 v[60:63], v42 offset:1024                     // 000000007ADC: D9FE0400 3C00002A
	ds_read_b128 v[64:67], v42 offset:2048                     // 000000007AE4: D9FE0800 4000002A
	s_waitcnt lgkmcnt(0)                                       // 000000007AEC: BF8CC07F
	v_permlane32_swap_b32_e32 v60, v62                         // 000000007AF0: 7E78B53E
	v_permlane32_swap_b32_e32 v61, v63                         // 000000007AF4: 7E7AB53F
	v_swap_b32 v61, v62                                        // 000000007AF8: 7E7AA33E
	v_permlane32_swap_b32_e32 v64, v66                         // 000000007AFC: 7E80B542
	v_permlane32_swap_b32_e32 v65, v67                         // 000000007B00: 7E82B543
	v_swap_b32 v65, v66                                        // 000000007B04: 7E82A342
	ds_read_b64_tr_b8 a[72:73], v9                             // 000000007B08: DBC40000 48000009
	ds_read_b64_tr_b8 a[74:75], v10                            // 000000007B10: DBC40000 4A00000A
	ds_read_b64_tr_b8 a[76:77], v9 offset:18432                // 000000007B18: DBC44800 4C000009
	ds_read_b64_tr_b8 a[78:79], v10 offset:18432               // 000000007B20: DBC44800 4E00000A
	ds_read_b64_tr_b8 a[80:81], v11                            // 000000007B28: DBC40000 5000000B
	ds_read_b64_tr_b8 a[82:83], v12                            // 000000007B30: DBC40000 5200000C
	ds_read_b64_tr_b8 a[84:85], v11 offset:18432               // 000000007B38: DBC44800 5400000B
	ds_read_b64_tr_b8 a[86:87], v12 offset:18432               // 000000007B40: DBC44800 5600000C
	ds_read_b64_tr_b8 a[88:89], v9 offset:1024                 // 000000007B48: DBC40400 58000009
	ds_read_b64_tr_b8 a[90:91], v10 offset:1024                // 000000007B50: DBC40400 5A00000A
	ds_read_b64_tr_b8 a[92:93], v9 offset:19456                // 000000007B58: DBC44C00 5C000009
	ds_read_b64_tr_b8 a[94:95], v10 offset:19456               // 000000007B60: DBC44C00 5E00000A
	ds_read_b64_tr_b8 a[96:97], v11 offset:1024                // 000000007B68: DBC40400 6000000B
	ds_read_b64_tr_b8 a[98:99], v12 offset:1024                // 000000007B70: DBC40400 6200000C
	ds_read_b64_tr_b8 a[100:101], v11 offset:19456             // 000000007B78: DBC44C00 6400000B
	ds_read_b64_tr_b8 a[102:103], v12 offset:19456             // 000000007B80: DBC44C00 6600000C
	ds_read_b64_tr_b8 a[104:105], v9 offset:2048               // 000000007B88: DBC40800 68000009
	ds_read_b64_tr_b8 a[106:107], v10 offset:2048              // 000000007B90: DBC40800 6A00000A
	ds_read_b64_tr_b8 a[108:109], v9 offset:20480              // 000000007B98: DBC45000 6C000009
	ds_read_b64_tr_b8 a[110:111], v10 offset:20480             // 000000007BA0: DBC45000 6E00000A
	ds_read_b64_tr_b8 a[112:113], v11 offset:2048              // 000000007BA8: DBC40800 7000000B
	ds_read_b64_tr_b8 a[114:115], v12 offset:2048              // 000000007BB0: DBC40800 7200000C
	ds_read_b64_tr_b8 a[116:117], v11 offset:20480             // 000000007BB8: DBC45000 7400000B
	ds_read_b64_tr_b8 a[118:119], v12 offset:20480             // 000000007BC0: DBC45000 7600000C
	ds_read_b64_tr_b8 a[120:121], v9 offset:3072               // 000000007BC8: DBC40C00 78000009
	ds_read_b64_tr_b8 a[122:123], v10 offset:3072              // 000000007BD0: DBC40C00 7A00000A
	ds_read_b64_tr_b8 a[124:125], v9 offset:21504              // 000000007BD8: DBC45400 7C000009
	ds_read_b64_tr_b8 a[126:127], v10 offset:21504             // 000000007BE0: DBC45400 7E00000A
	ds_read_b64_tr_b8 a[128:129], v11 offset:3072              // 000000007BE8: DBC40C00 8000000B
	ds_read_b64_tr_b8 a[130:131], v12 offset:3072              // 000000007BF0: DBC40C00 8200000C
	ds_read_b64_tr_b8 a[132:133], v11 offset:21504             // 000000007BF8: DBC45400 8400000B
	ds_read_b64_tr_b8 a[134:135], v12 offset:21504             // 000000007C00: DBC45400 8600000C
	s_waitcnt lgkmcnt(4)                                       // 000000007C08: BF8CC47F
	v_mfma_f32_32x32x64_f8f6f4 v[76:91], a[72:79], v[44:51], v[76:91]// 000000007C0C: D3AE004C 0D325948
	ds_read_b64_tr_b8 a[72:73], v13                            // 000000007C14: DBC40000 4800000D
	ds_read_b64_tr_b8 a[74:75], v14                            // 000000007C1C: DBC40000 4A00000E
	ds_read_b64_tr_b8 a[76:77], v13 offset:18432               // 000000007C24: DBC44800 4C00000D
	ds_read_b64_tr_b8 a[78:79], v14 offset:18432               // 000000007C2C: DBC44800 4E00000E
	v_mfma_f32_32x32x64_f8f6f4 v[92:107], a[80:87], v[44:51], v[92:107]// 000000007C34: D3AE005C 0D725950
	ds_read_b64_tr_b8 a[80:81], v15                            // 000000007C3C: DBC40000 5000000F
	ds_read_b64_tr_b8 a[82:83], v16                            // 000000007C44: DBC40000 52000010
	ds_read_b64_tr_b8 a[84:85], v15 offset:18432               // 000000007C4C: DBC44800 5400000F
	ds_read_b64_tr_b8 a[86:87], v16 offset:18432               // 000000007C54: DBC44800 56000010
	v_mfma_f32_32x32x64_f8f6f4 v[108:123], a[88:95], v[44:51], v[108:123]// 000000007C5C: D3AE006C 0DB25958
	ds_read_b64_tr_b8 a[88:89], v13 offset:1024                // 000000007C64: DBC40400 5800000D
	ds_read_b64_tr_b8 a[90:91], v14 offset:1024                // 000000007C6C: DBC40400 5A00000E
	ds_read_b64_tr_b8 a[92:93], v13 offset:19456               // 000000007C74: DBC44C00 5C00000D
	ds_read_b64_tr_b8 a[94:95], v14 offset:19456               // 000000007C7C: DBC44C00 5E00000E
	v_mfma_f32_32x32x64_f8f6f4 v[124:139], a[96:103], v[44:51], v[124:139]// 000000007C84: D3AE007C 0DF25960
	ds_read_b64_tr_b8 a[96:97], v15 offset:1024                // 000000007C8C: DBC40400 6000000F
	ds_read_b64_tr_b8 a[98:99], v16 offset:1024                // 000000007C94: DBC40400 62000010
	ds_read_b64_tr_b8 a[100:101], v15 offset:19456             // 000000007C9C: DBC44C00 6400000F
	ds_read_b64_tr_b8 a[102:103], v16 offset:19456             // 000000007CA4: DBC44C00 66000010
	v_mfma_f32_32x32x64_f8f6f4 v[140:155], a[104:111], v[44:51], v[140:155]// 000000007CAC: D3AE008C 0E325968
	ds_read_b64_tr_b8 a[104:105], v13 offset:2048              // 000000007CB4: DBC40800 6800000D
	ds_read_b64_tr_b8 a[106:107], v14 offset:2048              // 000000007CBC: DBC40800 6A00000E
	ds_read_b64_tr_b8 a[108:109], v13 offset:20480             // 000000007CC4: DBC45000 6C00000D
	ds_read_b64_tr_b8 a[110:111], v14 offset:20480             // 000000007CCC: DBC45000 6E00000E
	v_mfma_f32_32x32x64_f8f6f4 v[156:171], a[112:119], v[44:51], v[156:171]// 000000007CD4: D3AE009C 0E725970
	ds_read_b64_tr_b8 a[112:113], v15 offset:2048              // 000000007CDC: DBC40800 7000000F
	ds_read_b64_tr_b8 a[114:115], v16 offset:2048              // 000000007CE4: DBC40800 72000010
	ds_read_b64_tr_b8 a[116:117], v15 offset:20480             // 000000007CEC: DBC45000 7400000F
	ds_read_b64_tr_b8 a[118:119], v16 offset:20480             // 000000007CF4: DBC45000 76000010
	v_mfma_f32_32x32x64_f8f6f4 v[172:187], a[120:127], v[44:51], v[172:187]// 000000007CFC: D3AE00AC 0EB25978
	ds_read_b64_tr_b8 a[120:121], v13 offset:3072              // 000000007D04: DBC40C00 7800000D
	ds_read_b64_tr_b8 a[122:123], v14 offset:3072              // 000000007D0C: DBC40C00 7A00000E
	ds_read_b64_tr_b8 a[124:125], v13 offset:21504             // 000000007D14: DBC45400 7C00000D
	ds_read_b64_tr_b8 a[126:127], v14 offset:21504             // 000000007D1C: DBC45400 7E00000E
	v_mfma_f32_32x32x64_f8f6f4 v[188:203], a[128:135], v[44:51], v[188:203]// 000000007D24: D3AE00BC 0EF25980
	ds_read_b64_tr_b8 a[128:129], v15 offset:3072              // 000000007D2C: DBC40C00 8000000F
	ds_read_b64_tr_b8 a[130:131], v16 offset:3072              // 000000007D34: DBC40C00 82000010
	ds_read_b64_tr_b8 a[132:133], v15 offset:21504             // 000000007D3C: DBC45400 8400000F
	ds_read_b64_tr_b8 a[134:135], v16 offset:21504             // 000000007D44: DBC45400 86000010
	v_mov_b32_e32 v36, v21                                     // 000000007D4C: 7E480315
	v_mov_b32_e32 v37, v21                                     // 000000007D50: 7E4A0315
	v_pk_mul_f32 v[76:77], v[36:37], v[76:77]                  // 000000007D54: D3B1404C 18029924
	v_pk_mul_f32 v[78:79], v[36:37], v[78:79]                  // 000000007D5C: D3B1404E 18029D24
	v_pk_mul_f32 v[80:81], v[36:37], v[80:81]                  // 000000007D64: D3B14050 1802A124
	v_pk_mul_f32 v[82:83], v[36:37], v[82:83]                  // 000000007D6C: D3B14052 1802A524
	v_pk_mul_f32 v[84:85], v[36:37], v[84:85]                  // 000000007D74: D3B14054 1802A924
	v_pk_mul_f32 v[86:87], v[36:37], v[86:87]                  // 000000007D7C: D3B14056 1802AD24
	v_pk_mul_f32 v[88:89], v[36:37], v[88:89]                  // 000000007D84: D3B14058 1802B124
	v_pk_mul_f32 v[90:91], v[36:37], v[90:91]                  // 000000007D8C: D3B1405A 1802B524
	v_pk_mul_f32 v[92:93], v[36:37], v[92:93]                  // 000000007D94: D3B1405C 1802B924
	v_pk_mul_f32 v[94:95], v[36:37], v[94:95]                  // 000000007D9C: D3B1405E 1802BD24
	v_pk_mul_f32 v[96:97], v[36:37], v[96:97]                  // 000000007DA4: D3B14060 1802C124
	v_pk_mul_f32 v[98:99], v[36:37], v[98:99]                  // 000000007DAC: D3B14062 1802C524
	v_pk_mul_f32 v[100:101], v[36:37], v[100:101]              // 000000007DB4: D3B14064 1802C924
	v_pk_mul_f32 v[102:103], v[36:37], v[102:103]              // 000000007DBC: D3B14066 1802CD24
	v_pk_mul_f32 v[104:105], v[36:37], v[104:105]              // 000000007DC4: D3B14068 1802D124
	v_pk_mul_f32 v[106:107], v[36:37], v[106:107]              // 000000007DCC: D3B1406A 1802D524
	v_pk_mul_f32 v[108:109], v[36:37], v[108:109]              // 000000007DD4: D3B1406C 1802D924
	v_pk_mul_f32 v[110:111], v[36:37], v[110:111]              // 000000007DDC: D3B1406E 1802DD24
	v_pk_mul_f32 v[112:113], v[36:37], v[112:113]              // 000000007DE4: D3B14070 1802E124
	v_pk_mul_f32 v[114:115], v[36:37], v[114:115]              // 000000007DEC: D3B14072 1802E524
	v_pk_mul_f32 v[116:117], v[36:37], v[116:117]              // 000000007DF4: D3B14074 1802E924
	v_pk_mul_f32 v[118:119], v[36:37], v[118:119]              // 000000007DFC: D3B14076 1802ED24
	v_pk_mul_f32 v[120:121], v[36:37], v[120:121]              // 000000007E04: D3B14078 1802F124
	v_pk_mul_f32 v[122:123], v[36:37], v[122:123]              // 000000007E0C: D3B1407A 1802F524
	v_pk_mul_f32 v[124:125], v[36:37], v[124:125]              // 000000007E14: D3B1407C 1802F924
	v_pk_mul_f32 v[126:127], v[36:37], v[126:127]              // 000000007E1C: D3B1407E 1802FD24
	v_pk_mul_f32 v[128:129], v[36:37], v[128:129]              // 000000007E24: D3B14080 18030124
	v_pk_mul_f32 v[130:131], v[36:37], v[130:131]              // 000000007E2C: D3B14082 18030524
	v_pk_mul_f32 v[132:133], v[36:37], v[132:133]              // 000000007E34: D3B14084 18030924
	v_pk_mul_f32 v[134:135], v[36:37], v[134:135]              // 000000007E3C: D3B14086 18030D24
	v_pk_mul_f32 v[136:137], v[36:37], v[136:137]              // 000000007E44: D3B14088 18031124
	v_pk_mul_f32 v[138:139], v[36:37], v[138:139]              // 000000007E4C: D3B1408A 18031524
	v_pk_mul_f32 v[140:141], v[36:37], v[140:141]              // 000000007E54: D3B1408C 18031924
	v_pk_mul_f32 v[142:143], v[36:37], v[142:143]              // 000000007E5C: D3B1408E 18031D24
	v_pk_mul_f32 v[144:145], v[36:37], v[144:145]              // 000000007E64: D3B14090 18032124
	v_pk_mul_f32 v[146:147], v[36:37], v[146:147]              // 000000007E6C: D3B14092 18032524
	v_pk_mul_f32 v[148:149], v[36:37], v[148:149]              // 000000007E74: D3B14094 18032924
	v_pk_mul_f32 v[150:151], v[36:37], v[150:151]              // 000000007E7C: D3B14096 18032D24
	v_pk_mul_f32 v[152:153], v[36:37], v[152:153]              // 000000007E84: D3B14098 18033124
	v_pk_mul_f32 v[154:155], v[36:37], v[154:155]              // 000000007E8C: D3B1409A 18033524
	v_pk_mul_f32 v[156:157], v[36:37], v[156:157]              // 000000007E94: D3B1409C 18033924
	v_pk_mul_f32 v[158:159], v[36:37], v[158:159]              // 000000007E9C: D3B1409E 18033D24
	v_pk_mul_f32 v[160:161], v[36:37], v[160:161]              // 000000007EA4: D3B140A0 18034124
	v_pk_mul_f32 v[162:163], v[36:37], v[162:163]              // 000000007EAC: D3B140A2 18034524
	v_pk_mul_f32 v[164:165], v[36:37], v[164:165]              // 000000007EB4: D3B140A4 18034924
	v_pk_mul_f32 v[166:167], v[36:37], v[166:167]              // 000000007EBC: D3B140A6 18034D24
	v_pk_mul_f32 v[168:169], v[36:37], v[168:169]              // 000000007EC4: D3B140A8 18035124
	v_pk_mul_f32 v[170:171], v[36:37], v[170:171]              // 000000007ECC: D3B140AA 18035524
	v_pk_mul_f32 v[172:173], v[36:37], v[172:173]              // 000000007ED4: D3B140AC 18035924
	v_pk_mul_f32 v[174:175], v[36:37], v[174:175]              // 000000007EDC: D3B140AE 18035D24
	v_pk_mul_f32 v[176:177], v[36:37], v[176:177]              // 000000007EE4: D3B140B0 18036124
	v_pk_mul_f32 v[178:179], v[36:37], v[178:179]              // 000000007EEC: D3B140B2 18036524
	v_pk_mul_f32 v[180:181], v[36:37], v[180:181]              // 000000007EF4: D3B140B4 18036924
	v_pk_mul_f32 v[182:183], v[36:37], v[182:183]              // 000000007EFC: D3B140B6 18036D24
	v_pk_mul_f32 v[184:185], v[36:37], v[184:185]              // 000000007F04: D3B140B8 18037124
	v_pk_mul_f32 v[186:187], v[36:37], v[186:187]              // 000000007F0C: D3B140BA 18037524
	v_pk_mul_f32 v[188:189], v[36:37], v[188:189]              // 000000007F14: D3B140BC 18037924
	v_pk_mul_f32 v[190:191], v[36:37], v[190:191]              // 000000007F1C: D3B140BE 18037D24
	v_pk_mul_f32 v[192:193], v[36:37], v[192:193]              // 000000007F24: D3B140C0 18038124
	v_pk_mul_f32 v[194:195], v[36:37], v[194:195]              // 000000007F2C: D3B140C2 18038524
	v_pk_mul_f32 v[196:197], v[36:37], v[196:197]              // 000000007F34: D3B140C4 18038924
	v_pk_mul_f32 v[198:199], v[36:37], v[198:199]              // 000000007F3C: D3B140C6 18038D24
	v_pk_mul_f32 v[200:201], v[36:37], v[200:201]              // 000000007F44: D3B140C8 18039124
	v_pk_mul_f32 v[202:203], v[36:37], v[202:203]              // 000000007F4C: D3B140CA 18039524
	s_waitcnt vmcnt(0)                                         // 000000007F54: BF8C0F70
	s_barrier                                                  // 000000007F58: BF8A0000
	v_mfma_f32_32x32x64_f8f6f4 v[76:91], a[72:79], v[60:67], v[76:91]// 000000007F5C: D3AE004C 0D327948
	ds_read_b128 a[72:75], v28                                 // 000000007F64: DBFE0000 4800001C
	ds_read_b128 a[76:79], v29                                 // 000000007F6C: DBFE0000 4C00001D
	v_mfma_f32_32x32x64_f8f6f4 v[92:107], a[80:87], v[60:67], v[92:107]// 000000007F74: D3AE005C 0D727950
	ds_read_b128 a[80:83], v28 offset:1024                     // 000000007F7C: DBFE0400 5000001C
	ds_read_b128 a[84:87], v29 offset:1024                     // 000000007F84: DBFE0400 5400001D
	v_mfma_f32_32x32x64_f8f6f4 v[108:123], a[88:95], v[60:67], v[108:123]// 000000007F8C: D3AE006C 0DB27958
	ds_read_b128 a[88:91], v28 offset:2048                     // 000000007F94: DBFE0800 5800001C
	ds_read_b128 a[92:95], v29 offset:2048                     // 000000007F9C: DBFE0800 5C00001D
	v_mfma_f32_32x32x64_f8f6f4 v[124:139], a[96:103], v[60:67], v[124:139]// 000000007FA4: D3AE007C 0DF27960
	ds_read_b128 a[96:99], v28 offset:3072                     // 000000007FAC: DBFE0C00 6000001C
	ds_read_b128 a[100:103], v29 offset:3072                   // 000000007FB4: DBFE0C00 6400001D
	v_mfma_f32_32x32x64_f8f6f4 v[140:155], a[104:111], v[60:67], v[140:155]// 000000007FBC: D3AE008C 0E327968
	ds_read_b128 a[104:107], v28 offset:4096                   // 000000007FC4: DBFE1000 6800001C
	ds_read_b128 a[108:111], v29 offset:4096                   // 000000007FCC: DBFE1000 6C00001D
	v_mfma_f32_32x32x64_f8f6f4 v[156:171], a[112:119], v[60:67], v[156:171]// 000000007FD4: D3AE009C 0E727970
	ds_read_b128 a[112:115], v28 offset:5120                   // 000000007FDC: DBFE1400 7000001C
	ds_read_b128 a[116:119], v29 offset:5120                   // 000000007FE4: DBFE1400 7400001D
	v_mfma_f32_32x32x64_f8f6f4 v[172:187], a[120:127], v[60:67], v[172:187]// 000000007FEC: D3AE00AC 0EB27978
	ds_read_b128 a[120:123], v28 offset:6144                   // 000000007FF4: DBFE1800 7800001C
	ds_read_b128 a[124:127], v29 offset:6144                   // 000000007FFC: DBFE1800 7C00001D
	v_mfma_f32_32x32x64_f8f6f4 v[188:203], a[128:135], v[60:67], v[188:203]// 000000008004: D3AE00BC 0EF27980
	ds_read_b128 a[128:131], v28 offset:7168                   // 00000000800C: DBFE1C00 8000001C
	ds_read_b128 a[132:135], v29 offset:7168                   // 000000008014: DBFE1C00 8400001D
	ds_read_b128 a[136:139], v28 offset:8192                   // 00000000801C: DBFE2000 8800001C
	ds_read_b128 a[140:143], v29 offset:8192                   // 000000008024: DBFE2000 8C00001D
	s_branch label_6C10                                        // 00000000802C: BF8203B8

0000000000008030 <label_5D30>:
	s_nop 2                                                    // 000000008030: BF800002
	v_mov_b32_e32 v213, v44                                    // 000000008034: 7FAA032C
	v_max3_f32 v213, v44, v45, v213                            // 000000008038: D1D300D5 07565B2C
	v_max3_f32 v213, v46, v47, v213                            // 000000008040: D1D300D5 07565F2E
	v_max3_f32 v213, v48, v49, v213                            // 000000008048: D1D300D5 07566330
	v_max3_f32 v213, v50, v51, v213                            // 000000008050: D1D300D5 07566732
	v_max3_f32 v213, v52, v53, v213                            // 000000008058: D1D300D5 07566B34
	v_max3_f32 v213, v54, v55, v213                            // 000000008060: D1D300D5 07566F36
	v_max3_f32 v213, v56, v57, v213                            // 000000008068: D1D300D5 07567338
	v_max3_f32 v213, v58, v59, v213                            // 000000008070: D1D300D5 0756773A
	v_mov_b32_e32 v35, v213                                    // 000000008078: 7E4603D5
	v_mov_b32_e32 v36, v213                                    // 00000000807C: 7E4803D5
	s_nop 1                                                    // 000000008080: BF800001
	v_permlane32_swap_b32_e32 v35, v36                         // 000000008084: 7E46B524
	v_max3_f32 v213, v35, v36, v213                            // 000000008088: D1D300D5 07564923
	ds_write_b32 v41, v213                                     // 000000008090: D81A0000 0000D529
	s_waitcnt lgkmcnt(0)                                       // 000000008098: BF8CC07F
	s_barrier                                                  // 00000000809C: BF8A0000
	ds_read_b32 v35, v40                                       // 0000000080A0: D86C0000 23000028
	ds_read_b32 v36, v40 offset:256                            // 0000000080A8: D86C0100 24000028
	s_waitcnt lgkmcnt(0)                                       // 0000000080B0: BF8CC07F
	v_max3_f32 v213, v35, v36, v213                            // 0000000080B4: D1D300D5 07564923
	v_mov_b32_e32 v35, 0xff800000                              // 0000000080BC: 7E4602FF FF800000
	v_cmp_eq_u32_e64 s[36:37], v35, v2                         // 0000000080C4: D0CA0024 00020523
	v_max_f32_e32 v216, v213, v2                               // 0000000080CC: 17B005D5
	v_sub_f32_e32 v21, v2, v216                                // 0000000080D0: 042BB102
	v_cndmask_b32_e64 v21, v21, 0, s[36:37]                    // 0000000080D4: D1000015 00910115
	v_mov_b32_e32 v2, v216                                     // 0000000080DC: 7E0403D8
	v_mul_f32_e32 v212, s5, v216                               // 0000000080E0: 0BA9B005
	v_mul_f32_e32 v21, s5, v21                                 // 0000000080E4: 0A2A2A05
	v_exp_f32_e32 v21, v21                                     // 0000000080E8: 7E2A4115
	v_fma_f32 v44, v44, s5, -v212                              // 0000000080EC: D1CB002C 87500B2C
	v_fma_f32 v45, v45, s5, -v212                              // 0000000080F4: D1CB002D 87500B2D
	v_fma_f32 v46, v46, s5, -v212                              // 0000000080FC: D1CB002E 87500B2E
	v_fma_f32 v47, v47, s5, -v212                              // 000000008104: D1CB002F 87500B2F
	v_fma_f32 v48, v48, s5, -v212                              // 00000000810C: D1CB0030 87500B30
	v_fma_f32 v49, v49, s5, -v212                              // 000000008114: D1CB0031 87500B31
	v_fma_f32 v50, v50, s5, -v212                              // 00000000811C: D1CB0032 87500B32
	v_fma_f32 v51, v51, s5, -v212                              // 000000008124: D1CB0033 87500B33
	v_fma_f32 v52, v52, s5, -v212                              // 00000000812C: D1CB0034 87500B34
	v_fma_f32 v53, v53, s5, -v212                              // 000000008134: D1CB0035 87500B35
	v_fma_f32 v54, v54, s5, -v212                              // 00000000813C: D1CB0036 87500B36
	v_fma_f32 v55, v55, s5, -v212                              // 000000008144: D1CB0037 87500B37
	v_fma_f32 v56, v56, s5, -v212                              // 00000000814C: D1CB0038 87500B38
	v_fma_f32 v57, v57, s5, -v212                              // 000000008154: D1CB0039 87500B39
	v_fma_f32 v58, v58, s5, -v212                              // 00000000815C: D1CB003A 87500B3A
	v_fma_f32 v59, v59, s5, -v212                              // 000000008164: D1CB003B 87500B3B
	v_mov_b32_e32 v35, 0xffc00000                              // 00000000816C: 7E4602FF FFC00000
	v_exp_f32_e32 v44, v44                                     // 000000008174: 7E58412C
	v_exp_f32_e32 v45, v45                                     // 000000008178: 7E5A412D
	v_exp_f32_e32 v46, v46                                     // 00000000817C: 7E5C412E
	v_exp_f32_e32 v47, v47                                     // 000000008180: 7E5E412F
	v_exp_f32_e32 v48, v48                                     // 000000008184: 7E604130
	v_exp_f32_e32 v49, v49                                     // 000000008188: 7E624131
	v_exp_f32_e32 v50, v50                                     // 00000000818C: 7E644132
	v_exp_f32_e32 v51, v51                                     // 000000008190: 7E664133
	v_exp_f32_e32 v52, v52                                     // 000000008194: 7E684134
	v_exp_f32_e32 v53, v53                                     // 000000008198: 7E6A4135
	v_exp_f32_e32 v54, v54                                     // 00000000819C: 7E6C4136
	v_exp_f32_e32 v55, v55                                     // 0000000081A0: 7E6E4137
	v_exp_f32_e32 v56, v56                                     // 0000000081A4: 7E704138
	v_exp_f32_e32 v57, v57                                     // 0000000081A8: 7E724139
	v_exp_f32_e32 v58, v58                                     // 0000000081AC: 7E74413A
	v_exp_f32_e32 v59, v59                                     // 0000000081B0: 7E76413B
	v_mul_f32_e32 v4, v21, v4                                  // 0000000081B4: 0A080915
	v_mov_b32_e32 v35, v44                                     // 0000000081B8: 7E46032C
	v_add_f32_e32 v35, v45, v35                                // 0000000081BC: 0246472D
	v_add_f32_e32 v35, v46, v35                                // 0000000081C0: 0246472E
	v_add_f32_e32 v35, v47, v35                                // 0000000081C4: 0246472F
	v_add_f32_e32 v35, v48, v35                                // 0000000081C8: 02464730
	v_add_f32_e32 v35, v49, v35                                // 0000000081CC: 02464731
	v_add_f32_e32 v35, v50, v35                                // 0000000081D0: 02464732
	v_add_f32_e32 v35, v51, v35                                // 0000000081D4: 02464733
	v_add_f32_e32 v35, v52, v35                                // 0000000081D8: 02464734
	v_add_f32_e32 v35, v53, v35                                // 0000000081DC: 02464735
	v_add_f32_e32 v35, v54, v35                                // 0000000081E0: 02464736
	v_add_f32_e32 v35, v55, v35                                // 0000000081E4: 02464737
	v_add_f32_e32 v35, v56, v35                                // 0000000081E8: 02464738
	v_add_f32_e32 v35, v57, v35                                // 0000000081EC: 02464739
	v_add_f32_e32 v35, v58, v35                                // 0000000081F0: 0246473A
	v_add_f32_e32 v35, v59, v35                                // 0000000081F4: 0246473B
	v_add_f32_e32 v4, v35, v4                                  // 0000000081F8: 02080923
	v_cvt_pk_fp8_f32 v44, v44, v45                             // 0000000081FC: D2A2002C 00025B2C
	v_cvt_pk_fp8_f32 v44, v46, v47 op_sel:[0,0,1]              // 000000008204: D2A2402C 00025F2E
	v_cvt_pk_fp8_f32 v45, v48, v49                             // 00000000820C: D2A2002D 00026330
	v_cvt_pk_fp8_f32 v45, v50, v51 op_sel:[0,0,1]              // 000000008214: D2A2402D 00026732
	v_cvt_pk_fp8_f32 v46, v52, v53                             // 00000000821C: D2A2002E 00026B34
	v_cvt_pk_fp8_f32 v46, v54, v55 op_sel:[0,0,1]              // 000000008224: D2A2402E 00026F36
	v_cvt_pk_fp8_f32 v47, v56, v57                             // 00000000822C: D2A2002F 00027338
	v_cvt_pk_fp8_f32 v47, v58, v59 op_sel:[0,0,1]              // 000000008234: D2A2402F 0002773A
	ds_write_b128 v43, v[44:47] offset:1024                    // 00000000823C: D9BE0400 00002C2B
	s_waitcnt lgkmcnt(0)                                       // 000000008244: BF8CC07F
	s_barrier                                                  // 000000008248: BF8A0000
	ds_read_b128 v[44:47], v42 offset:1024                     // 00000000824C: D9FE0400 2C00002A
	ds_read_b128 v[48:51], v42 offset:2048                     // 000000008254: D9FE0800 3000002A
	s_waitcnt lgkmcnt(0)                                       // 00000000825C: BF8CC07F
	v_permlane32_swap_b32_e32 v44, v46                         // 000000008260: 7E58B52E
	v_permlane32_swap_b32_e32 v45, v47                         // 000000008264: 7E5AB52F
	v_swap_b32 v45, v46                                        // 000000008268: 7E5AA32E
	v_permlane32_swap_b32_e32 v48, v50                         // 00000000826C: 7E60B532
	v_permlane32_swap_b32_e32 v49, v51                         // 000000008270: 7E62B533
	v_swap_b32 v49, v50                                        // 000000008274: 7E62A332
	ds_read_b64_tr_b8 a[72:73], v13                            // 000000008278: DBC40000 4800000D
	ds_read_b64_tr_b8 a[74:75], v14                            // 000000008280: DBC40000 4A00000E
	ds_read_b64_tr_b8 a[76:77], v13 offset:18432               // 000000008288: DBC44800 4C00000D
	ds_read_b64_tr_b8 a[78:79], v14 offset:18432               // 000000008290: DBC44800 4E00000E
	ds_read_b64_tr_b8 a[80:81], v15                            // 000000008298: DBC40000 5000000F
	ds_read_b64_tr_b8 a[82:83], v16                            // 0000000082A0: DBC40000 52000010
	ds_read_b64_tr_b8 a[84:85], v15 offset:18432               // 0000000082A8: DBC44800 5400000F
	ds_read_b64_tr_b8 a[86:87], v16 offset:18432               // 0000000082B0: DBC44800 56000010
	ds_read_b64_tr_b8 a[88:89], v13 offset:1024                // 0000000082B8: DBC40400 5800000D
	ds_read_b64_tr_b8 a[90:91], v14 offset:1024                // 0000000082C0: DBC40400 5A00000E
	ds_read_b64_tr_b8 a[92:93], v13 offset:19456               // 0000000082C8: DBC44C00 5C00000D
	ds_read_b64_tr_b8 a[94:95], v14 offset:19456               // 0000000082D0: DBC44C00 5E00000E
	ds_read_b64_tr_b8 a[96:97], v15 offset:1024                // 0000000082D8: DBC40400 6000000F
	ds_read_b64_tr_b8 a[98:99], v16 offset:1024                // 0000000082E0: DBC40400 62000010
	ds_read_b64_tr_b8 a[100:101], v15 offset:19456             // 0000000082E8: DBC44C00 6400000F
	ds_read_b64_tr_b8 a[102:103], v16 offset:19456             // 0000000082F0: DBC44C00 66000010
	ds_read_b64_tr_b8 a[104:105], v13 offset:2048              // 0000000082F8: DBC40800 6800000D
	ds_read_b64_tr_b8 a[106:107], v14 offset:2048              // 000000008300: DBC40800 6A00000E
	ds_read_b64_tr_b8 a[108:109], v13 offset:20480             // 000000008308: DBC45000 6C00000D
	ds_read_b64_tr_b8 a[110:111], v14 offset:20480             // 000000008310: DBC45000 6E00000E
	ds_read_b64_tr_b8 a[112:113], v15 offset:2048              // 000000008318: DBC40800 7000000F
	ds_read_b64_tr_b8 a[114:115], v16 offset:2048              // 000000008320: DBC40800 72000010
	ds_read_b64_tr_b8 a[116:117], v15 offset:20480             // 000000008328: DBC45000 7400000F
	ds_read_b64_tr_b8 a[118:119], v16 offset:20480             // 000000008330: DBC45000 76000010
	ds_read_b64_tr_b8 a[120:121], v13 offset:3072              // 000000008338: DBC40C00 7800000D
	ds_read_b64_tr_b8 a[122:123], v14 offset:3072              // 000000008340: DBC40C00 7A00000E
	ds_read_b64_tr_b8 a[124:125], v13 offset:21504             // 000000008348: DBC45400 7C00000D
	ds_read_b64_tr_b8 a[126:127], v14 offset:21504             // 000000008350: DBC45400 7E00000E
	ds_read_b64_tr_b8 a[128:129], v15 offset:3072              // 000000008358: DBC40C00 8000000F
	ds_read_b64_tr_b8 a[130:131], v16 offset:3072              // 000000008360: DBC40C00 82000010
	ds_read_b64_tr_b8 a[132:133], v15 offset:21504             // 000000008368: DBC45400 8400000F
	ds_read_b64_tr_b8 a[134:135], v16 offset:21504             // 000000008370: DBC45400 86000010
	s_waitcnt lgkmcnt(4)                                       // 000000008378: BF8CC47F
	v_mfma_f32_32x32x64_f8f6f4 v[76:91], a[72:79], v[60:67], v[76:91]// 00000000837C: D3AE004C 0D327948
	ds_read_b64_tr_b8 a[72:73], v17                            // 000000008384: DBC40000 48000011
	ds_read_b64_tr_b8 a[74:75], v18                            // 00000000838C: DBC40000 4A000012
	ds_read_b64_tr_b8 a[76:77], v17 offset:18432               // 000000008394: DBC44800 4C000011
	ds_read_b64_tr_b8 a[78:79], v18 offset:18432               // 00000000839C: DBC44800 4E000012
	v_mfma_f32_32x32x64_f8f6f4 v[92:107], a[80:87], v[60:67], v[92:107]// 0000000083A4: D3AE005C 0D727950
	ds_read_b64_tr_b8 a[80:81], v19                            // 0000000083AC: DBC40000 50000013
	ds_read_b64_tr_b8 a[82:83], v20                            // 0000000083B4: DBC40000 52000014
	ds_read_b64_tr_b8 a[84:85], v19 offset:18432               // 0000000083BC: DBC44800 54000013
	ds_read_b64_tr_b8 a[86:87], v20 offset:18432               // 0000000083C4: DBC44800 56000014
	v_mfma_f32_32x32x64_f8f6f4 v[108:123], a[88:95], v[60:67], v[108:123]// 0000000083CC: D3AE006C 0DB27958
	ds_read_b64_tr_b8 a[88:89], v17 offset:1024                // 0000000083D4: DBC40400 58000011
	ds_read_b64_tr_b8 a[90:91], v18 offset:1024                // 0000000083DC: DBC40400 5A000012
	ds_read_b64_tr_b8 a[92:93], v17 offset:19456               // 0000000083E4: DBC44C00 5C000011
	ds_read_b64_tr_b8 a[94:95], v18 offset:19456               // 0000000083EC: DBC44C00 5E000012
	v_mfma_f32_32x32x64_f8f6f4 v[124:139], a[96:103], v[60:67], v[124:139]// 0000000083F4: D3AE007C 0DF27960
	ds_read_b64_tr_b8 a[96:97], v19 offset:1024                // 0000000083FC: DBC40400 60000013
	ds_read_b64_tr_b8 a[98:99], v20 offset:1024                // 000000008404: DBC40400 62000014
	ds_read_b64_tr_b8 a[100:101], v19 offset:19456             // 00000000840C: DBC44C00 64000013
	ds_read_b64_tr_b8 a[102:103], v20 offset:19456             // 000000008414: DBC44C00 66000014
	v_mfma_f32_32x32x64_f8f6f4 v[140:155], a[104:111], v[60:67], v[140:155]// 00000000841C: D3AE008C 0E327968
	ds_read_b64_tr_b8 a[104:105], v17 offset:2048              // 000000008424: DBC40800 68000011
	ds_read_b64_tr_b8 a[106:107], v18 offset:2048              // 00000000842C: DBC40800 6A000012
	ds_read_b64_tr_b8 a[108:109], v17 offset:20480             // 000000008434: DBC45000 6C000011
	ds_read_b64_tr_b8 a[110:111], v18 offset:20480             // 00000000843C: DBC45000 6E000012
	v_mfma_f32_32x32x64_f8f6f4 v[156:171], a[112:119], v[60:67], v[156:171]// 000000008444: D3AE009C 0E727970
	ds_read_b64_tr_b8 a[112:113], v19 offset:2048              // 00000000844C: DBC40800 70000013
	ds_read_b64_tr_b8 a[114:115], v20 offset:2048              // 000000008454: DBC40800 72000014
	ds_read_b64_tr_b8 a[116:117], v19 offset:20480             // 00000000845C: DBC45000 74000013
	ds_read_b64_tr_b8 a[118:119], v20 offset:20480             // 000000008464: DBC45000 76000014
	v_mfma_f32_32x32x64_f8f6f4 v[172:187], a[120:127], v[60:67], v[172:187]// 00000000846C: D3AE00AC 0EB27978
	ds_read_b64_tr_b8 a[120:121], v17 offset:3072              // 000000008474: DBC40C00 78000011
	ds_read_b64_tr_b8 a[122:123], v18 offset:3072              // 00000000847C: DBC40C00 7A000012
	ds_read_b64_tr_b8 a[124:125], v17 offset:21504             // 000000008484: DBC45400 7C000011
	ds_read_b64_tr_b8 a[126:127], v18 offset:21504             // 00000000848C: DBC45400 7E000012
	v_mfma_f32_32x32x64_f8f6f4 v[188:203], a[128:135], v[60:67], v[188:203]// 000000008494: D3AE00BC 0EF27980
	ds_read_b64_tr_b8 a[128:129], v19 offset:3072              // 00000000849C: DBC40C00 80000013
	ds_read_b64_tr_b8 a[130:131], v20 offset:3072              // 0000000084A4: DBC40C00 82000014
	ds_read_b64_tr_b8 a[132:133], v19 offset:21504             // 0000000084AC: DBC45400 84000013
	ds_read_b64_tr_b8 a[134:135], v20 offset:21504             // 0000000084B4: DBC45400 86000014
	v_mov_b32_e32 v36, v21                                     // 0000000084BC: 7E480315
	v_mov_b32_e32 v37, v21                                     // 0000000084C0: 7E4A0315
	v_pk_mul_f32 v[76:77], v[36:37], v[76:77]                  // 0000000084C4: D3B1404C 18029924
	v_pk_mul_f32 v[78:79], v[36:37], v[78:79]                  // 0000000084CC: D3B1404E 18029D24
	v_pk_mul_f32 v[80:81], v[36:37], v[80:81]                  // 0000000084D4: D3B14050 1802A124
	v_pk_mul_f32 v[82:83], v[36:37], v[82:83]                  // 0000000084DC: D3B14052 1802A524
	v_pk_mul_f32 v[84:85], v[36:37], v[84:85]                  // 0000000084E4: D3B14054 1802A924
	v_pk_mul_f32 v[86:87], v[36:37], v[86:87]                  // 0000000084EC: D3B14056 1802AD24
	v_pk_mul_f32 v[88:89], v[36:37], v[88:89]                  // 0000000084F4: D3B14058 1802B124
	v_pk_mul_f32 v[90:91], v[36:37], v[90:91]                  // 0000000084FC: D3B1405A 1802B524
	v_pk_mul_f32 v[92:93], v[36:37], v[92:93]                  // 000000008504: D3B1405C 1802B924
	v_pk_mul_f32 v[94:95], v[36:37], v[94:95]                  // 00000000850C: D3B1405E 1802BD24
	v_pk_mul_f32 v[96:97], v[36:37], v[96:97]                  // 000000008514: D3B14060 1802C124
	v_pk_mul_f32 v[98:99], v[36:37], v[98:99]                  // 00000000851C: D3B14062 1802C524
	v_pk_mul_f32 v[100:101], v[36:37], v[100:101]              // 000000008524: D3B14064 1802C924
	v_pk_mul_f32 v[102:103], v[36:37], v[102:103]              // 00000000852C: D3B14066 1802CD24
	v_pk_mul_f32 v[104:105], v[36:37], v[104:105]              // 000000008534: D3B14068 1802D124
	v_pk_mul_f32 v[106:107], v[36:37], v[106:107]              // 00000000853C: D3B1406A 1802D524
	v_pk_mul_f32 v[108:109], v[36:37], v[108:109]              // 000000008544: D3B1406C 1802D924
	v_pk_mul_f32 v[110:111], v[36:37], v[110:111]              // 00000000854C: D3B1406E 1802DD24
	v_pk_mul_f32 v[112:113], v[36:37], v[112:113]              // 000000008554: D3B14070 1802E124
	v_pk_mul_f32 v[114:115], v[36:37], v[114:115]              // 00000000855C: D3B14072 1802E524
	v_pk_mul_f32 v[116:117], v[36:37], v[116:117]              // 000000008564: D3B14074 1802E924
	v_pk_mul_f32 v[118:119], v[36:37], v[118:119]              // 00000000856C: D3B14076 1802ED24
	v_pk_mul_f32 v[120:121], v[36:37], v[120:121]              // 000000008574: D3B14078 1802F124
	v_pk_mul_f32 v[122:123], v[36:37], v[122:123]              // 00000000857C: D3B1407A 1802F524
	v_pk_mul_f32 v[124:125], v[36:37], v[124:125]              // 000000008584: D3B1407C 1802F924
	v_pk_mul_f32 v[126:127], v[36:37], v[126:127]              // 00000000858C: D3B1407E 1802FD24
	v_pk_mul_f32 v[128:129], v[36:37], v[128:129]              // 000000008594: D3B14080 18030124
	v_pk_mul_f32 v[130:131], v[36:37], v[130:131]              // 00000000859C: D3B14082 18030524
	v_pk_mul_f32 v[132:133], v[36:37], v[132:133]              // 0000000085A4: D3B14084 18030924
	v_pk_mul_f32 v[134:135], v[36:37], v[134:135]              // 0000000085AC: D3B14086 18030D24
	v_pk_mul_f32 v[136:137], v[36:37], v[136:137]              // 0000000085B4: D3B14088 18031124
	v_pk_mul_f32 v[138:139], v[36:37], v[138:139]              // 0000000085BC: D3B1408A 18031524
	v_pk_mul_f32 v[140:141], v[36:37], v[140:141]              // 0000000085C4: D3B1408C 18031924
	v_pk_mul_f32 v[142:143], v[36:37], v[142:143]              // 0000000085CC: D3B1408E 18031D24
	v_pk_mul_f32 v[144:145], v[36:37], v[144:145]              // 0000000085D4: D3B14090 18032124
	v_pk_mul_f32 v[146:147], v[36:37], v[146:147]              // 0000000085DC: D3B14092 18032524
	v_pk_mul_f32 v[148:149], v[36:37], v[148:149]              // 0000000085E4: D3B14094 18032924
	v_pk_mul_f32 v[150:151], v[36:37], v[150:151]              // 0000000085EC: D3B14096 18032D24
	v_pk_mul_f32 v[152:153], v[36:37], v[152:153]              // 0000000085F4: D3B14098 18033124
	v_pk_mul_f32 v[154:155], v[36:37], v[154:155]              // 0000000085FC: D3B1409A 18033524
	v_pk_mul_f32 v[156:157], v[36:37], v[156:157]              // 000000008604: D3B1409C 18033924
	v_pk_mul_f32 v[158:159], v[36:37], v[158:159]              // 00000000860C: D3B1409E 18033D24
	v_pk_mul_f32 v[160:161], v[36:37], v[160:161]              // 000000008614: D3B140A0 18034124
	v_pk_mul_f32 v[162:163], v[36:37], v[162:163]              // 00000000861C: D3B140A2 18034524
	v_pk_mul_f32 v[164:165], v[36:37], v[164:165]              // 000000008624: D3B140A4 18034924
	v_pk_mul_f32 v[166:167], v[36:37], v[166:167]              // 00000000862C: D3B140A6 18034D24
	v_pk_mul_f32 v[168:169], v[36:37], v[168:169]              // 000000008634: D3B140A8 18035124
	v_pk_mul_f32 v[170:171], v[36:37], v[170:171]              // 00000000863C: D3B140AA 18035524
	v_pk_mul_f32 v[172:173], v[36:37], v[172:173]              // 000000008644: D3B140AC 18035924
	v_pk_mul_f32 v[174:175], v[36:37], v[174:175]              // 00000000864C: D3B140AE 18035D24
	v_pk_mul_f32 v[176:177], v[36:37], v[176:177]              // 000000008654: D3B140B0 18036124
	v_pk_mul_f32 v[178:179], v[36:37], v[178:179]              // 00000000865C: D3B140B2 18036524
	v_pk_mul_f32 v[180:181], v[36:37], v[180:181]              // 000000008664: D3B140B4 18036924
	v_pk_mul_f32 v[182:183], v[36:37], v[182:183]              // 00000000866C: D3B140B6 18036D24
	v_pk_mul_f32 v[184:185], v[36:37], v[184:185]              // 000000008674: D3B140B8 18037124
	v_pk_mul_f32 v[186:187], v[36:37], v[186:187]              // 00000000867C: D3B140BA 18037524
	v_pk_mul_f32 v[188:189], v[36:37], v[188:189]              // 000000008684: D3B140BC 18037924
	v_pk_mul_f32 v[190:191], v[36:37], v[190:191]              // 00000000868C: D3B140BE 18037D24
	v_pk_mul_f32 v[192:193], v[36:37], v[192:193]              // 000000008694: D3B140C0 18038124
	v_pk_mul_f32 v[194:195], v[36:37], v[194:195]              // 00000000869C: D3B140C2 18038524
	v_pk_mul_f32 v[196:197], v[36:37], v[196:197]              // 0000000086A4: D3B140C4 18038924
	v_pk_mul_f32 v[198:199], v[36:37], v[198:199]              // 0000000086AC: D3B140C6 18038D24
	v_pk_mul_f32 v[200:201], v[36:37], v[200:201]              // 0000000086B4: D3B140C8 18039124
	v_pk_mul_f32 v[202:203], v[36:37], v[202:203]              // 0000000086BC: D3B140CA 18039524
	s_waitcnt vmcnt(0)                                         // 0000000086C4: BF8C0F70
	s_barrier                                                  // 0000000086C8: BF8A0000
	v_mfma_f32_32x32x64_f8f6f4 v[76:91], a[72:79], v[44:51], v[76:91]// 0000000086CC: D3AE004C 0D325948
	ds_read_b128 a[72:75], v22                                 // 0000000086D4: DBFE0000 48000016
	ds_read_b128 a[76:79], v23                                 // 0000000086DC: DBFE0000 4C000017
	v_mfma_f32_32x32x64_f8f6f4 v[92:107], a[80:87], v[44:51], v[92:107]// 0000000086E4: D3AE005C 0D725950
	ds_read_b128 a[80:83], v22 offset:1024                     // 0000000086EC: DBFE0400 50000016
	ds_read_b128 a[84:87], v23 offset:1024                     // 0000000086F4: DBFE0400 54000017
	v_mfma_f32_32x32x64_f8f6f4 v[108:123], a[88:95], v[44:51], v[108:123]// 0000000086FC: D3AE006C 0DB25958
	ds_read_b128 a[88:91], v22 offset:2048                     // 000000008704: DBFE0800 58000016
	ds_read_b128 a[92:95], v23 offset:2048                     // 00000000870C: DBFE0800 5C000017
	v_mfma_f32_32x32x64_f8f6f4 v[124:139], a[96:103], v[44:51], v[124:139]// 000000008714: D3AE007C 0DF25960
	ds_read_b128 a[96:99], v22 offset:3072                     // 00000000871C: DBFE0C00 60000016
	ds_read_b128 a[100:103], v23 offset:3072                   // 000000008724: DBFE0C00 64000017
	v_mfma_f32_32x32x64_f8f6f4 v[140:155], a[104:111], v[44:51], v[140:155]// 00000000872C: D3AE008C 0E325968
	ds_read_b128 a[104:107], v22 offset:4096                   // 000000008734: DBFE1000 68000016
	ds_read_b128 a[108:111], v23 offset:4096                   // 00000000873C: DBFE1000 6C000017
	v_mfma_f32_32x32x64_f8f6f4 v[156:171], a[112:119], v[44:51], v[156:171]// 000000008744: D3AE009C 0E725970
	ds_read_b128 a[112:115], v22 offset:5120                   // 00000000874C: DBFE1400 70000016
	ds_read_b128 a[116:119], v23 offset:5120                   // 000000008754: DBFE1400 74000017
	v_mfma_f32_32x32x64_f8f6f4 v[172:187], a[120:127], v[44:51], v[172:187]// 00000000875C: D3AE00AC 0EB25978
	ds_read_b128 a[120:123], v22 offset:6144                   // 000000008764: DBFE1800 78000016
	ds_read_b128 a[124:127], v23 offset:6144                   // 00000000876C: DBFE1800 7C000017
	v_mfma_f32_32x32x64_f8f6f4 v[188:203], a[128:135], v[44:51], v[188:203]// 000000008774: D3AE00BC 0EF25980
	ds_read_b128 a[128:131], v22 offset:7168                   // 00000000877C: DBFE1C00 80000016
	ds_read_b128 a[132:135], v23 offset:7168                   // 000000008784: DBFE1C00 84000017
	ds_read_b128 a[136:139], v22 offset:8192                   // 00000000878C: DBFE2000 88000016
	ds_read_b128 a[140:143], v23 offset:8192                   // 000000008794: DBFE2000 8C000017
	s_branch label_6C10                                        // 00000000879C: BF8201DC

00000000000087a0 <label_64A0>:
	s_nop 2                                                    // 0000000087A0: BF800002
	v_mov_b32_e32 v213, v60                                    // 0000000087A4: 7FAA033C
	v_max3_f32 v213, v60, v61, v213                            // 0000000087A8: D1D300D5 07567B3C
	v_max3_f32 v213, v62, v63, v213                            // 0000000087B0: D1D300D5 07567F3E
	v_max3_f32 v213, v64, v65, v213                            // 0000000087B8: D1D300D5 07568340
	v_max3_f32 v213, v66, v67, v213                            // 0000000087C0: D1D300D5 07568742
	v_max3_f32 v213, v68, v69, v213                            // 0000000087C8: D1D300D5 07568B44
	v_max3_f32 v213, v70, v71, v213                            // 0000000087D0: D1D300D5 07568F46
	v_max3_f32 v213, v72, v73, v213                            // 0000000087D8: D1D300D5 07569348
	v_max3_f32 v213, v74, v75, v213                            // 0000000087E0: D1D300D5 0756974A
	v_mov_b32_e32 v35, v213                                    // 0000000087E8: 7E4603D5
	v_mov_b32_e32 v36, v213                                    // 0000000087EC: 7E4803D5
	s_nop 1                                                    // 0000000087F0: BF800001
	v_permlane32_swap_b32_e32 v35, v36                         // 0000000087F4: 7E46B524
	v_max3_f32 v213, v35, v36, v213                            // 0000000087F8: D1D300D5 07564923
	ds_write_b32 v41, v213                                     // 000000008800: D81A0000 0000D529
	s_waitcnt lgkmcnt(0)                                       // 000000008808: BF8CC07F
	s_barrier                                                  // 00000000880C: BF8A0000
	ds_read_b32 v35, v40                                       // 000000008810: D86C0000 23000028
	ds_read_b32 v36, v40 offset:256                            // 000000008818: D86C0100 24000028
	s_waitcnt lgkmcnt(0)                                       // 000000008820: BF8CC07F
	v_max3_f32 v213, v35, v36, v213                            // 000000008824: D1D300D5 07564923
	v_mov_b32_e32 v35, 0xff800000                              // 00000000882C: 7E4602FF FF800000
	v_cmp_eq_u32_e64 s[36:37], v35, v2                         // 000000008834: D0CA0024 00020523
	v_max_f32_e32 v216, v213, v2                               // 00000000883C: 17B005D5
	v_sub_f32_e32 v21, v2, v216                                // 000000008840: 042BB102
	v_cndmask_b32_e64 v21, v21, 0, s[36:37]                    // 000000008844: D1000015 00910115
	v_mov_b32_e32 v2, v216                                     // 00000000884C: 7E0403D8
	v_mul_f32_e32 v212, s5, v216                               // 000000008850: 0BA9B005
	v_mul_f32_e32 v21, s5, v21                                 // 000000008854: 0A2A2A05
	v_exp_f32_e32 v21, v21                                     // 000000008858: 7E2A4115
	v_fma_f32 v60, v60, s5, -v212                              // 00000000885C: D1CB003C 87500B3C
	v_fma_f32 v61, v61, s5, -v212                              // 000000008864: D1CB003D 87500B3D
	v_fma_f32 v62, v62, s5, -v212                              // 00000000886C: D1CB003E 87500B3E
	v_fma_f32 v63, v63, s5, -v212                              // 000000008874: D1CB003F 87500B3F
	v_fma_f32 v64, v64, s5, -v212                              // 00000000887C: D1CB0040 87500B40
	v_fma_f32 v65, v65, s5, -v212                              // 000000008884: D1CB0041 87500B41
	v_fma_f32 v66, v66, s5, -v212                              // 00000000888C: D1CB0042 87500B42
	v_fma_f32 v67, v67, s5, -v212                              // 000000008894: D1CB0043 87500B43
	v_fma_f32 v68, v68, s5, -v212                              // 00000000889C: D1CB0044 87500B44
	v_fma_f32 v69, v69, s5, -v212                              // 0000000088A4: D1CB0045 87500B45
	v_fma_f32 v70, v70, s5, -v212                              // 0000000088AC: D1CB0046 87500B46
	v_fma_f32 v71, v71, s5, -v212                              // 0000000088B4: D1CB0047 87500B47
	v_fma_f32 v72, v72, s5, -v212                              // 0000000088BC: D1CB0048 87500B48
	v_fma_f32 v73, v73, s5, -v212                              // 0000000088C4: D1CB0049 87500B49
	v_fma_f32 v74, v74, s5, -v212                              // 0000000088CC: D1CB004A 87500B4A
	v_fma_f32 v75, v75, s5, -v212                              // 0000000088D4: D1CB004B 87500B4B
	v_mov_b32_e32 v35, 0xffc00000                              // 0000000088DC: 7E4602FF FFC00000
	v_exp_f32_e32 v60, v60                                     // 0000000088E4: 7E78413C
	v_exp_f32_e32 v61, v61                                     // 0000000088E8: 7E7A413D
	v_exp_f32_e32 v62, v62                                     // 0000000088EC: 7E7C413E
	v_exp_f32_e32 v63, v63                                     // 0000000088F0: 7E7E413F
	v_exp_f32_e32 v64, v64                                     // 0000000088F4: 7E804140
	v_exp_f32_e32 v65, v65                                     // 0000000088F8: 7E824141
	v_exp_f32_e32 v66, v66                                     // 0000000088FC: 7E844142
	v_exp_f32_e32 v67, v67                                     // 000000008900: 7E864143
	v_exp_f32_e32 v68, v68                                     // 000000008904: 7E884144
	v_exp_f32_e32 v69, v69                                     // 000000008908: 7E8A4145
	v_exp_f32_e32 v70, v70                                     // 00000000890C: 7E8C4146
	v_exp_f32_e32 v71, v71                                     // 000000008910: 7E8E4147
	v_exp_f32_e32 v72, v72                                     // 000000008914: 7E904148
	v_exp_f32_e32 v73, v73                                     // 000000008918: 7E924149
	v_exp_f32_e32 v74, v74                                     // 00000000891C: 7E94414A
	v_exp_f32_e32 v75, v75                                     // 000000008920: 7E96414B
	v_mul_f32_e32 v4, v21, v4                                  // 000000008924: 0A080915
	v_mov_b32_e32 v35, v60                                     // 000000008928: 7E46033C
	v_add_f32_e32 v35, v61, v35                                // 00000000892C: 0246473D
	v_add_f32_e32 v35, v62, v35                                // 000000008930: 0246473E
	v_add_f32_e32 v35, v63, v35                                // 000000008934: 0246473F
	v_add_f32_e32 v35, v64, v35                                // 000000008938: 02464740
	v_add_f32_e32 v35, v65, v35                                // 00000000893C: 02464741
	v_add_f32_e32 v35, v66, v35                                // 000000008940: 02464742
	v_add_f32_e32 v35, v67, v35                                // 000000008944: 02464743
	;; [unrolled: 1-line block ×3, first 2 shown]
	v_add_f32_e32 v35, v69, v35                                // 00000000894C: 02464745
	v_add_f32_e32 v35, v70, v35                                // 000000008950: 02464746
	v_add_f32_e32 v35, v71, v35                                // 000000008954: 02464747
	;; [unrolled: 1-line block ×3, first 2 shown]
	v_add_f32_e32 v35, v73, v35                                // 00000000895C: 02464749
	v_add_f32_e32 v35, v74, v35                                // 000000008960: 0246474A
	v_add_f32_e32 v35, v75, v35                                // 000000008964: 0246474B
	v_add_f32_e32 v4, v35, v4                                  // 000000008968: 02080923
	v_cvt_pk_fp8_f32 v60, v60, v61                             // 00000000896C: D2A2003C 00027B3C
	v_cvt_pk_fp8_f32 v60, v62, v63 op_sel:[0,0,1]              // 000000008974: D2A2403C 00027F3E
	v_cvt_pk_fp8_f32 v61, v64, v65                             // 00000000897C: D2A2003D 00028340
	v_cvt_pk_fp8_f32 v61, v66, v67 op_sel:[0,0,1]              // 000000008984: D2A2403D 00028742
	v_cvt_pk_fp8_f32 v62, v68, v69                             // 00000000898C: D2A2003E 00028B44
	v_cvt_pk_fp8_f32 v62, v70, v71 op_sel:[0,0,1]              // 000000008994: D2A2403E 00028F46
	v_cvt_pk_fp8_f32 v63, v72, v73                             // 00000000899C: D2A2003F 00029348
	v_cvt_pk_fp8_f32 v63, v74, v75 op_sel:[0,0,1]              // 0000000089A4: D2A2403F 0002974A
	ds_write_b128 v43, v[60:63] offset:1024                    // 0000000089AC: D9BE0400 00003C2B
	s_waitcnt lgkmcnt(0)                                       // 0000000089B4: BF8CC07F
	s_barrier                                                  // 0000000089B8: BF8A0000
	ds_read_b128 v[60:63], v42 offset:1024                     // 0000000089BC: D9FE0400 3C00002A
	ds_read_b128 v[64:67], v42 offset:2048                     // 0000000089C4: D9FE0800 4000002A
	s_waitcnt lgkmcnt(0)                                       // 0000000089CC: BF8CC07F
	v_permlane32_swap_b32_e32 v60, v62                         // 0000000089D0: 7E78B53E
	v_permlane32_swap_b32_e32 v61, v63                         // 0000000089D4: 7E7AB53F
	v_swap_b32 v61, v62                                        // 0000000089D8: 7E7AA33E
	v_permlane32_swap_b32_e32 v64, v66                         // 0000000089DC: 7E80B542
	v_permlane32_swap_b32_e32 v65, v67                         // 0000000089E0: 7E82B543
	v_swap_b32 v65, v66                                        // 0000000089E4: 7E82A342
	ds_read_b64_tr_b8 a[72:73], v17                            // 0000000089E8: DBC40000 48000011
	ds_read_b64_tr_b8 a[74:75], v18                            // 0000000089F0: DBC40000 4A000012
	ds_read_b64_tr_b8 a[76:77], v17 offset:18432               // 0000000089F8: DBC44800 4C000011
	ds_read_b64_tr_b8 a[78:79], v18 offset:18432               // 000000008A00: DBC44800 4E000012
	ds_read_b64_tr_b8 a[80:81], v19                            // 000000008A08: DBC40000 50000013
	ds_read_b64_tr_b8 a[82:83], v20                            // 000000008A10: DBC40000 52000014
	ds_read_b64_tr_b8 a[84:85], v19 offset:18432               // 000000008A18: DBC44800 54000013
	ds_read_b64_tr_b8 a[86:87], v20 offset:18432               // 000000008A20: DBC44800 56000014
	ds_read_b64_tr_b8 a[88:89], v17 offset:1024                // 000000008A28: DBC40400 58000011
	ds_read_b64_tr_b8 a[90:91], v18 offset:1024                // 000000008A30: DBC40400 5A000012
	ds_read_b64_tr_b8 a[92:93], v17 offset:19456               // 000000008A38: DBC44C00 5C000011
	ds_read_b64_tr_b8 a[94:95], v18 offset:19456               // 000000008A40: DBC44C00 5E000012
	ds_read_b64_tr_b8 a[96:97], v19 offset:1024                // 000000008A48: DBC40400 60000013
	ds_read_b64_tr_b8 a[98:99], v20 offset:1024                // 000000008A50: DBC40400 62000014
	ds_read_b64_tr_b8 a[100:101], v19 offset:19456             // 000000008A58: DBC44C00 64000013
	ds_read_b64_tr_b8 a[102:103], v20 offset:19456             // 000000008A60: DBC44C00 66000014
	ds_read_b64_tr_b8 a[104:105], v17 offset:2048              // 000000008A68: DBC40800 68000011
	ds_read_b64_tr_b8 a[106:107], v18 offset:2048              // 000000008A70: DBC40800 6A000012
	ds_read_b64_tr_b8 a[108:109], v17 offset:20480             // 000000008A78: DBC45000 6C000011
	ds_read_b64_tr_b8 a[110:111], v18 offset:20480             // 000000008A80: DBC45000 6E000012
	ds_read_b64_tr_b8 a[112:113], v19 offset:2048              // 000000008A88: DBC40800 70000013
	ds_read_b64_tr_b8 a[114:115], v20 offset:2048              // 000000008A90: DBC40800 72000014
	ds_read_b64_tr_b8 a[116:117], v19 offset:20480             // 000000008A98: DBC45000 74000013
	ds_read_b64_tr_b8 a[118:119], v20 offset:20480             // 000000008AA0: DBC45000 76000014
	ds_read_b64_tr_b8 a[120:121], v17 offset:3072              // 000000008AA8: DBC40C00 78000011
	ds_read_b64_tr_b8 a[122:123], v18 offset:3072              // 000000008AB0: DBC40C00 7A000012
	ds_read_b64_tr_b8 a[124:125], v17 offset:21504             // 000000008AB8: DBC45400 7C000011
	ds_read_b64_tr_b8 a[126:127], v18 offset:21504             // 000000008AC0: DBC45400 7E000012
	ds_read_b64_tr_b8 a[128:129], v19 offset:3072              // 000000008AC8: DBC40C00 80000013
	ds_read_b64_tr_b8 a[130:131], v20 offset:3072              // 000000008AD0: DBC40C00 82000014
	ds_read_b64_tr_b8 a[132:133], v19 offset:21504             // 000000008AD8: DBC45400 84000013
	ds_read_b64_tr_b8 a[134:135], v20 offset:21504             // 000000008AE0: DBC45400 86000014
	s_waitcnt lgkmcnt(4)                                       // 000000008AE8: BF8CC47F
	v_mfma_f32_32x32x64_f8f6f4 v[76:91], a[72:79], v[44:51], v[76:91]// 000000008AEC: D3AE004C 0D325948
	ds_read_b64_tr_b8 a[72:73], v5                             // 000000008AF4: DBC40000 48000005
	ds_read_b64_tr_b8 a[74:75], v6                             // 000000008AFC: DBC40000 4A000006
	ds_read_b64_tr_b8 a[76:77], v5 offset:18432                // 000000008B04: DBC44800 4C000005
	ds_read_b64_tr_b8 a[78:79], v6 offset:18432                // 000000008B0C: DBC44800 4E000006
	v_mfma_f32_32x32x64_f8f6f4 v[92:107], a[80:87], v[44:51], v[92:107]// 000000008B14: D3AE005C 0D725950
	ds_read_b64_tr_b8 a[80:81], v7                             // 000000008B1C: DBC40000 50000007
	ds_read_b64_tr_b8 a[82:83], v8                             // 000000008B24: DBC40000 52000008
	ds_read_b64_tr_b8 a[84:85], v7 offset:18432                // 000000008B2C: DBC44800 54000007
	ds_read_b64_tr_b8 a[86:87], v8 offset:18432                // 000000008B34: DBC44800 56000008
	v_mfma_f32_32x32x64_f8f6f4 v[108:123], a[88:95], v[44:51], v[108:123]// 000000008B3C: D3AE006C 0DB25958
	ds_read_b64_tr_b8 a[88:89], v5 offset:1024                 // 000000008B44: DBC40400 58000005
	ds_read_b64_tr_b8 a[90:91], v6 offset:1024                 // 000000008B4C: DBC40400 5A000006
	ds_read_b64_tr_b8 a[92:93], v5 offset:19456                // 000000008B54: DBC44C00 5C000005
	ds_read_b64_tr_b8 a[94:95], v6 offset:19456                // 000000008B5C: DBC44C00 5E000006
	v_mfma_f32_32x32x64_f8f6f4 v[124:139], a[96:103], v[44:51], v[124:139]// 000000008B64: D3AE007C 0DF25960
	ds_read_b64_tr_b8 a[96:97], v7 offset:1024                 // 000000008B6C: DBC40400 60000007
	ds_read_b64_tr_b8 a[98:99], v8 offset:1024                 // 000000008B74: DBC40400 62000008
	ds_read_b64_tr_b8 a[100:101], v7 offset:19456              // 000000008B7C: DBC44C00 64000007
	ds_read_b64_tr_b8 a[102:103], v8 offset:19456              // 000000008B84: DBC44C00 66000008
	v_mfma_f32_32x32x64_f8f6f4 v[140:155], a[104:111], v[44:51], v[140:155]// 000000008B8C: D3AE008C 0E325968
	ds_read_b64_tr_b8 a[104:105], v5 offset:2048               // 000000008B94: DBC40800 68000005
	ds_read_b64_tr_b8 a[106:107], v6 offset:2048               // 000000008B9C: DBC40800 6A000006
	ds_read_b64_tr_b8 a[108:109], v5 offset:20480              // 000000008BA4: DBC45000 6C000005
	ds_read_b64_tr_b8 a[110:111], v6 offset:20480              // 000000008BAC: DBC45000 6E000006
	v_mfma_f32_32x32x64_f8f6f4 v[156:171], a[112:119], v[44:51], v[156:171]// 000000008BB4: D3AE009C 0E725970
	ds_read_b64_tr_b8 a[112:113], v7 offset:2048               // 000000008BBC: DBC40800 70000007
	ds_read_b64_tr_b8 a[114:115], v8 offset:2048               // 000000008BC4: DBC40800 72000008
	ds_read_b64_tr_b8 a[116:117], v7 offset:20480              // 000000008BCC: DBC45000 74000007
	ds_read_b64_tr_b8 a[118:119], v8 offset:20480              // 000000008BD4: DBC45000 76000008
	v_mfma_f32_32x32x64_f8f6f4 v[172:187], a[120:127], v[44:51], v[172:187]// 000000008BDC: D3AE00AC 0EB25978
	ds_read_b64_tr_b8 a[120:121], v5 offset:3072               // 000000008BE4: DBC40C00 78000005
	ds_read_b64_tr_b8 a[122:123], v6 offset:3072               // 000000008BEC: DBC40C00 7A000006
	ds_read_b64_tr_b8 a[124:125], v5 offset:21504              // 000000008BF4: DBC45400 7C000005
	ds_read_b64_tr_b8 a[126:127], v6 offset:21504              // 000000008BFC: DBC45400 7E000006
	v_mfma_f32_32x32x64_f8f6f4 v[188:203], a[128:135], v[44:51], v[188:203]// 000000008C04: D3AE00BC 0EF25980
	ds_read_b64_tr_b8 a[128:129], v7 offset:3072               // 000000008C0C: DBC40C00 80000007
	ds_read_b64_tr_b8 a[130:131], v8 offset:3072               // 000000008C14: DBC40C00 82000008
	ds_read_b64_tr_b8 a[132:133], v7 offset:21504              // 000000008C1C: DBC45400 84000007
	ds_read_b64_tr_b8 a[134:135], v8 offset:21504              // 000000008C24: DBC45400 86000008
	v_mov_b32_e32 v36, v21                                     // 000000008C2C: 7E480315
	v_mov_b32_e32 v37, v21                                     // 000000008C30: 7E4A0315
	v_pk_mul_f32 v[76:77], v[36:37], v[76:77]                  // 000000008C34: D3B1404C 18029924
	v_pk_mul_f32 v[78:79], v[36:37], v[78:79]                  // 000000008C3C: D3B1404E 18029D24
	v_pk_mul_f32 v[80:81], v[36:37], v[80:81]                  // 000000008C44: D3B14050 1802A124
	v_pk_mul_f32 v[82:83], v[36:37], v[82:83]                  // 000000008C4C: D3B14052 1802A524
	v_pk_mul_f32 v[84:85], v[36:37], v[84:85]                  // 000000008C54: D3B14054 1802A924
	v_pk_mul_f32 v[86:87], v[36:37], v[86:87]                  // 000000008C5C: D3B14056 1802AD24
	v_pk_mul_f32 v[88:89], v[36:37], v[88:89]                  // 000000008C64: D3B14058 1802B124
	v_pk_mul_f32 v[90:91], v[36:37], v[90:91]                  // 000000008C6C: D3B1405A 1802B524
	v_pk_mul_f32 v[92:93], v[36:37], v[92:93]                  // 000000008C74: D3B1405C 1802B924
	v_pk_mul_f32 v[94:95], v[36:37], v[94:95]                  // 000000008C7C: D3B1405E 1802BD24
	v_pk_mul_f32 v[96:97], v[36:37], v[96:97]                  // 000000008C84: D3B14060 1802C124
	v_pk_mul_f32 v[98:99], v[36:37], v[98:99]                  // 000000008C8C: D3B14062 1802C524
	v_pk_mul_f32 v[100:101], v[36:37], v[100:101]              // 000000008C94: D3B14064 1802C924
	v_pk_mul_f32 v[102:103], v[36:37], v[102:103]              // 000000008C9C: D3B14066 1802CD24
	v_pk_mul_f32 v[104:105], v[36:37], v[104:105]              // 000000008CA4: D3B14068 1802D124
	v_pk_mul_f32 v[106:107], v[36:37], v[106:107]              // 000000008CAC: D3B1406A 1802D524
	v_pk_mul_f32 v[108:109], v[36:37], v[108:109]              // 000000008CB4: D3B1406C 1802D924
	v_pk_mul_f32 v[110:111], v[36:37], v[110:111]              // 000000008CBC: D3B1406E 1802DD24
	v_pk_mul_f32 v[112:113], v[36:37], v[112:113]              // 000000008CC4: D3B14070 1802E124
	v_pk_mul_f32 v[114:115], v[36:37], v[114:115]              // 000000008CCC: D3B14072 1802E524
	v_pk_mul_f32 v[116:117], v[36:37], v[116:117]              // 000000008CD4: D3B14074 1802E924
	v_pk_mul_f32 v[118:119], v[36:37], v[118:119]              // 000000008CDC: D3B14076 1802ED24
	v_pk_mul_f32 v[120:121], v[36:37], v[120:121]              // 000000008CE4: D3B14078 1802F124
	v_pk_mul_f32 v[122:123], v[36:37], v[122:123]              // 000000008CEC: D3B1407A 1802F524
	v_pk_mul_f32 v[124:125], v[36:37], v[124:125]              // 000000008CF4: D3B1407C 1802F924
	v_pk_mul_f32 v[126:127], v[36:37], v[126:127]              // 000000008CFC: D3B1407E 1802FD24
	v_pk_mul_f32 v[128:129], v[36:37], v[128:129]              // 000000008D04: D3B14080 18030124
	v_pk_mul_f32 v[130:131], v[36:37], v[130:131]              // 000000008D0C: D3B14082 18030524
	v_pk_mul_f32 v[132:133], v[36:37], v[132:133]              // 000000008D14: D3B14084 18030924
	v_pk_mul_f32 v[134:135], v[36:37], v[134:135]              // 000000008D1C: D3B14086 18030D24
	v_pk_mul_f32 v[136:137], v[36:37], v[136:137]              // 000000008D24: D3B14088 18031124
	v_pk_mul_f32 v[138:139], v[36:37], v[138:139]              // 000000008D2C: D3B1408A 18031524
	v_pk_mul_f32 v[140:141], v[36:37], v[140:141]              // 000000008D34: D3B1408C 18031924
	v_pk_mul_f32 v[142:143], v[36:37], v[142:143]              // 000000008D3C: D3B1408E 18031D24
	v_pk_mul_f32 v[144:145], v[36:37], v[144:145]              // 000000008D44: D3B14090 18032124
	v_pk_mul_f32 v[146:147], v[36:37], v[146:147]              // 000000008D4C: D3B14092 18032524
	v_pk_mul_f32 v[148:149], v[36:37], v[148:149]              // 000000008D54: D3B14094 18032924
	v_pk_mul_f32 v[150:151], v[36:37], v[150:151]              // 000000008D5C: D3B14096 18032D24
	v_pk_mul_f32 v[152:153], v[36:37], v[152:153]              // 000000008D64: D3B14098 18033124
	v_pk_mul_f32 v[154:155], v[36:37], v[154:155]              // 000000008D6C: D3B1409A 18033524
	v_pk_mul_f32 v[156:157], v[36:37], v[156:157]              // 000000008D74: D3B1409C 18033924
	v_pk_mul_f32 v[158:159], v[36:37], v[158:159]              // 000000008D7C: D3B1409E 18033D24
	v_pk_mul_f32 v[160:161], v[36:37], v[160:161]              // 000000008D84: D3B140A0 18034124
	v_pk_mul_f32 v[162:163], v[36:37], v[162:163]              // 000000008D8C: D3B140A2 18034524
	v_pk_mul_f32 v[164:165], v[36:37], v[164:165]              // 000000008D94: D3B140A4 18034924
	v_pk_mul_f32 v[166:167], v[36:37], v[166:167]              // 000000008D9C: D3B140A6 18034D24
	v_pk_mul_f32 v[168:169], v[36:37], v[168:169]              // 000000008DA4: D3B140A8 18035124
	v_pk_mul_f32 v[170:171], v[36:37], v[170:171]              // 000000008DAC: D3B140AA 18035524
	v_pk_mul_f32 v[172:173], v[36:37], v[172:173]              // 000000008DB4: D3B140AC 18035924
	v_pk_mul_f32 v[174:175], v[36:37], v[174:175]              // 000000008DBC: D3B140AE 18035D24
	v_pk_mul_f32 v[176:177], v[36:37], v[176:177]              // 000000008DC4: D3B140B0 18036124
	v_pk_mul_f32 v[178:179], v[36:37], v[178:179]              // 000000008DCC: D3B140B2 18036524
	v_pk_mul_f32 v[180:181], v[36:37], v[180:181]              // 000000008DD4: D3B140B4 18036924
	v_pk_mul_f32 v[182:183], v[36:37], v[182:183]              // 000000008DDC: D3B140B6 18036D24
	v_pk_mul_f32 v[184:185], v[36:37], v[184:185]              // 000000008DE4: D3B140B8 18037124
	v_pk_mul_f32 v[186:187], v[36:37], v[186:187]              // 000000008DEC: D3B140BA 18037524
	v_pk_mul_f32 v[188:189], v[36:37], v[188:189]              // 000000008DF4: D3B140BC 18037924
	v_pk_mul_f32 v[190:191], v[36:37], v[190:191]              // 000000008DFC: D3B140BE 18037D24
	v_pk_mul_f32 v[192:193], v[36:37], v[192:193]              // 000000008E04: D3B140C0 18038124
	v_pk_mul_f32 v[194:195], v[36:37], v[194:195]              // 000000008E0C: D3B140C2 18038524
	v_pk_mul_f32 v[196:197], v[36:37], v[196:197]              // 000000008E14: D3B140C4 18038924
	v_pk_mul_f32 v[198:199], v[36:37], v[198:199]              // 000000008E1C: D3B140C6 18038D24
	v_pk_mul_f32 v[200:201], v[36:37], v[200:201]              // 000000008E24: D3B140C8 18039124
	v_pk_mul_f32 v[202:203], v[36:37], v[202:203]              // 000000008E2C: D3B140CA 18039524
	s_waitcnt vmcnt(0)                                         // 000000008E34: BF8C0F70
	s_barrier                                                  // 000000008E38: BF8A0000
	v_mfma_f32_32x32x64_f8f6f4 v[76:91], a[72:79], v[60:67], v[76:91]// 000000008E3C: D3AE004C 0D327948
	ds_read_b128 a[72:75], v24                                 // 000000008E44: DBFE0000 48000018
	ds_read_b128 a[76:79], v25                                 // 000000008E4C: DBFE0000 4C000019
	v_mfma_f32_32x32x64_f8f6f4 v[92:107], a[80:87], v[60:67], v[92:107]// 000000008E54: D3AE005C 0D727950
	ds_read_b128 a[80:83], v24 offset:1024                     // 000000008E5C: DBFE0400 50000018
	ds_read_b128 a[84:87], v25 offset:1024                     // 000000008E64: DBFE0400 54000019
	v_mfma_f32_32x32x64_f8f6f4 v[108:123], a[88:95], v[60:67], v[108:123]// 000000008E6C: D3AE006C 0DB27958
	ds_read_b128 a[88:91], v24 offset:2048                     // 000000008E74: DBFE0800 58000018
	ds_read_b128 a[92:95], v25 offset:2048                     // 000000008E7C: DBFE0800 5C000019
	v_mfma_f32_32x32x64_f8f6f4 v[124:139], a[96:103], v[60:67], v[124:139]// 000000008E84: D3AE007C 0DF27960
	ds_read_b128 a[96:99], v24 offset:3072                     // 000000008E8C: DBFE0C00 60000018
	ds_read_b128 a[100:103], v25 offset:3072                   // 000000008E94: DBFE0C00 64000019
	v_mfma_f32_32x32x64_f8f6f4 v[140:155], a[104:111], v[60:67], v[140:155]// 000000008E9C: D3AE008C 0E327968
	ds_read_b128 a[104:107], v24 offset:4096                   // 000000008EA4: DBFE1000 68000018
	ds_read_b128 a[108:111], v25 offset:4096                   // 000000008EAC: DBFE1000 6C000019
	v_mfma_f32_32x32x64_f8f6f4 v[156:171], a[112:119], v[60:67], v[156:171]// 000000008EB4: D3AE009C 0E727970
	ds_read_b128 a[112:115], v24 offset:5120                   // 000000008EBC: DBFE1400 70000018
	ds_read_b128 a[116:119], v25 offset:5120                   // 000000008EC4: DBFE1400 74000019
	v_mfma_f32_32x32x64_f8f6f4 v[172:187], a[120:127], v[60:67], v[172:187]// 000000008ECC: D3AE00AC 0EB27978
	ds_read_b128 a[120:123], v24 offset:6144                   // 000000008ED4: DBFE1800 78000018
	ds_read_b128 a[124:127], v25 offset:6144                   // 000000008EDC: DBFE1800 7C000019
	v_mfma_f32_32x32x64_f8f6f4 v[188:203], a[128:135], v[60:67], v[188:203]// 000000008EE4: D3AE00BC 0EF27980
	ds_read_b128 a[128:131], v24 offset:7168                   // 000000008EEC: DBFE1C00 80000018
	ds_read_b128 a[132:135], v25 offset:7168                   // 000000008EF4: DBFE1C00 84000019
	ds_read_b128 a[136:139], v24 offset:8192                   // 000000008EFC: DBFE2000 88000018
	ds_read_b128 a[140:143], v25 offset:8192                   // 000000008F04: DBFE2000 8C000019
	s_branch label_6C10                                        // 000000008F0C: BF820000

0000000000008f10 <label_6C10>:
	s_cmp_eq_i32 s48, 0                                        // 000000008F10: BF008030
	s_cbranch_scc1 label_8AAC                                  // 000000008F14: BF8507A5

0000000000008f18 <label_6C18>:
	s_and_b32 s56, 3, s71                                      // 000000008F18: 86384783
	s_cmp_eq_i32 s56, 1                                        // 000000008F1C: BF008138
	s_cbranch_scc1 label_6C3C                                  // 000000008F20: BF850006
	s_cmp_eq_i32 s56, 2                                        // 000000008F24: BF008238
	s_cbranch_scc1 label_73D8                                  // 000000008F28: BF8501EB
	s_cmp_eq_i32 s56, 3                                        // 000000008F2C: BF008338
	s_cbranch_scc1 label_7B74                                  // 000000008F30: BF8503D0
	s_cmp_eq_i32 s56, 0                                        // 000000008F34: BF008038
	s_cbranch_scc1 label_8310                                  // 000000008F38: BF8505B5

0000000000008f3c <label_6C3C>:
	s_waitcnt lgkmcnt(4)                                       // 000000008F3C: BF8CC47F
	v_mfma_f32_32x32x64_f8f6f4 v[60:75], a[72:79], a[0:7], 0   // 000000008F40: D3AE003C 1A020148
	v_mfma_f32_32x32x64_f8f6f4 v[60:75], a[80:87], a[8:15], v[60:75]// 000000008F48: D3AE003C 1CF21150
	v_mfma_f32_32x32x64_f8f6f4 v[60:75], a[88:95], a[16:23], v[60:75]// 000000008F50: D3AE003C 1CF22158
	ds_read_b64_tr_b8 a[72:73], v13                            // 000000008F58: DBC40000 4800000D
	ds_read_b64_tr_b8 a[74:75], v14                            // 000000008F60: DBC40000 4A00000E
	ds_read_b64_tr_b8 a[76:77], v13 offset:18432               // 000000008F68: DBC44800 4C00000D
	ds_read_b64_tr_b8 a[78:79], v14 offset:18432               // 000000008F70: DBC44800 4E00000E
	v_mfma_f32_32x32x64_f8f6f4 v[60:75], a[96:103], a[24:31], v[60:75]// 000000008F78: D3AE003C 1CF23160
	ds_read_b64_tr_b8 a[80:81], v15                            // 000000008F80: DBC40000 5000000F
	ds_read_b64_tr_b8 a[82:83], v16                            // 000000008F88: DBC40000 52000010
	ds_read_b64_tr_b8 a[84:85], v15 offset:18432               // 000000008F90: DBC44800 5400000F
	ds_read_b64_tr_b8 a[86:87], v16 offset:18432               // 000000008F98: DBC44800 56000010
	v_mfma_f32_32x32x64_f8f6f4 v[60:75], a[104:111], a[32:39], v[60:75]// 000000008FA0: D3AE003C 1CF24168
	ds_read_b64_tr_b8 a[88:89], v13 offset:1024                // 000000008FA8: DBC40400 5800000D
	ds_read_b64_tr_b8 a[90:91], v14 offset:1024                // 000000008FB0: DBC40400 5A00000E
	ds_read_b64_tr_b8 a[92:93], v13 offset:19456               // 000000008FB8: DBC44C00 5C00000D
	ds_read_b64_tr_b8 a[94:95], v14 offset:19456               // 000000008FC0: DBC44C00 5E00000E
	v_mfma_f32_32x32x64_f8f6f4 v[60:75], a[112:119], a[40:47], v[60:75]// 000000008FC8: D3AE003C 1CF25170
	ds_read_b64_tr_b8 a[96:97], v15 offset:1024                // 000000008FD0: DBC40400 6000000F
	ds_read_b64_tr_b8 a[98:99], v16 offset:1024                // 000000008FD8: DBC40400 62000010
	ds_read_b64_tr_b8 a[100:101], v15 offset:19456             // 000000008FE0: DBC44C00 6400000F
	ds_read_b64_tr_b8 a[102:103], v16 offset:19456             // 000000008FE8: DBC44C00 66000010
	v_mfma_f32_32x32x64_f8f6f4 v[60:75], a[120:127], a[48:55], v[60:75]// 000000008FF0: D3AE003C 1CF26178
	ds_read_b64_tr_b8 a[104:105], v13 offset:2048              // 000000008FF8: DBC40800 6800000D
	ds_read_b64_tr_b8 a[106:107], v14 offset:2048              // 000000009000: DBC40800 6A00000E
	ds_read_b64_tr_b8 a[108:109], v13 offset:20480             // 000000009008: DBC45000 6C00000D
	ds_read_b64_tr_b8 a[110:111], v14 offset:20480             // 000000009010: DBC45000 6E00000E
	v_mfma_f32_32x32x64_f8f6f4 v[60:75], a[128:135], a[56:63], v[60:75]// 000000009018: D3AE003C 1CF27180
	ds_read_b64_tr_b8 a[112:113], v15 offset:2048              // 000000009020: DBC40800 7000000F
	ds_read_b64_tr_b8 a[114:115], v16 offset:2048              // 000000009028: DBC40800 72000010
	ds_read_b64_tr_b8 a[116:117], v15 offset:20480             // 000000009030: DBC45000 7400000F
	ds_read_b64_tr_b8 a[118:119], v16 offset:20480             // 000000009038: DBC45000 76000010
	v_mfma_f32_32x32x64_f8f6f4 v[60:75], a[136:143], a[64:71], v[60:75]// 000000009040: D3AE003C 1CF28188
	ds_read_b64_tr_b8 a[120:121], v13 offset:3072              // 000000009048: DBC40C00 7800000D
	ds_read_b64_tr_b8 a[122:123], v14 offset:3072              // 000000009050: DBC40C00 7A00000E
	ds_read_b64_tr_b8 a[124:125], v13 offset:21504             // 000000009058: DBC45400 7C00000D
	ds_read_b64_tr_b8 a[126:127], v14 offset:21504             // 000000009060: DBC45400 7E00000E
	ds_read_b64_tr_b8 a[128:129], v15 offset:3072              // 000000009068: DBC40C00 8000000F
	ds_read_b64_tr_b8 a[130:131], v16 offset:3072              // 000000009070: DBC40C00 82000010
	ds_read_b64_tr_b8 a[132:133], v15 offset:21504             // 000000009078: DBC45400 8400000F
	ds_read_b64_tr_b8 a[134:135], v16 offset:21504             // 000000009080: DBC45400 86000010
	s_and_b32 s56, s48, 0xff                                   // 000000009088: 8638FF30 000000FF
	v_mov_b32_e32 v36, s56                                     // 000000009090: 7E480238
	v_lshrrev_b32_e32 v204, 5, v0                              // 000000009094: 21980085
	v_mul_i32_i24_e32 v204, 4, v204                            // 000000009098: 0D999884
	s_and_b32 s56, s7, 1                                       // 00000000909C: 86388107
	s_mov_b32 s57, 32                                          // 0000000090A0: BEB900A0
	s_mul_i32 s56, s57, s56                                    // 0000000090A4: 92383839
	v_add_u32_e32 v204, s56, v204                              // 0000000090A8: 69999838
	v_add_u32_e32 v205, 1, v204                                // 0000000090AC: 699B9881
	v_add_u32_e32 v206, 2, v204                                // 0000000090B0: 699D9882
	v_add_u32_e32 v207, 3, v204                                // 0000000090B4: 699F9883
	v_mov_b32_e32 v35, 0xff800000                              // 0000000090B8: 7E4602FF FF800000
	v_cmp_lt_u32_e64 s[36:37], v204, v36                       // 0000000090C0: D0C90024 000249CC
	v_add_u32_e32 v204, 8, v204                                // 0000000090C8: 69999888
	s_nop 0                                                    // 0000000090CC: BF800000
	v_cndmask_b32_e64 v60, v35, v60, s[36:37]                  // 0000000090D0: D100003C 00927923
	v_cmp_lt_u32_e64 s[36:37], v205, v36                       // 0000000090D8: D0C90024 000249CD
	v_add_u32_e32 v205, 8, v205                                // 0000000090E0: 699B9A88
	s_nop 0                                                    // 0000000090E4: BF800000
	v_cndmask_b32_e64 v61, v35, v61, s[36:37]                  // 0000000090E8: D100003D 00927B23
	v_cmp_lt_u32_e64 s[36:37], v206, v36                       // 0000000090F0: D0C90024 000249CE
	v_add_u32_e32 v206, 8, v206                                // 0000000090F8: 699D9C88
	s_nop 0                                                    // 0000000090FC: BF800000
	v_cndmask_b32_e64 v62, v35, v62, s[36:37]                  // 000000009100: D100003E 00927D23
	v_cmp_lt_u32_e64 s[36:37], v207, v36                       // 000000009108: D0C90024 000249CF
	v_add_u32_e32 v207, 8, v207                                // 000000009110: 699F9E88
	s_nop 0                                                    // 000000009114: BF800000
	v_cndmask_b32_e64 v63, v35, v63, s[36:37]                  // 000000009118: D100003F 00927F23
	v_cmp_lt_u32_e64 s[36:37], v204, v36                       // 000000009120: D0C90024 000249CC
	v_add_u32_e32 v204, 8, v204                                // 000000009128: 69999888
	s_nop 0                                                    // 00000000912C: BF800000
	v_cndmask_b32_e64 v64, v35, v64, s[36:37]                  // 000000009130: D1000040 00928123
	v_cmp_lt_u32_e64 s[36:37], v205, v36                       // 000000009138: D0C90024 000249CD
	v_add_u32_e32 v205, 8, v205                                // 000000009140: 699B9A88
	s_nop 0                                                    // 000000009144: BF800000
	v_cndmask_b32_e64 v65, v35, v65, s[36:37]                  // 000000009148: D1000041 00928323
	v_cmp_lt_u32_e64 s[36:37], v206, v36                       // 000000009150: D0C90024 000249CE
	v_add_u32_e32 v206, 8, v206                                // 000000009158: 699D9C88
	s_nop 0                                                    // 00000000915C: BF800000
	v_cndmask_b32_e64 v66, v35, v66, s[36:37]                  // 000000009160: D1000042 00928523
	v_cmp_lt_u32_e64 s[36:37], v207, v36                       // 000000009168: D0C90024 000249CF
	v_add_u32_e32 v207, 8, v207                                // 000000009170: 699F9E88
	s_nop 0                                                    // 000000009174: BF800000
	v_cndmask_b32_e64 v67, v35, v67, s[36:37]                  // 000000009178: D1000043 00928723
	v_cmp_lt_u32_e64 s[36:37], v204, v36                       // 000000009180: D0C90024 000249CC
	v_add_u32_e32 v204, 8, v204                                // 000000009188: 69999888
	s_nop 0                                                    // 00000000918C: BF800000
	v_cndmask_b32_e64 v68, v35, v68, s[36:37]                  // 000000009190: D1000044 00928923
	v_cmp_lt_u32_e64 s[36:37], v205, v36                       // 000000009198: D0C90024 000249CD
	v_add_u32_e32 v205, 8, v205                                // 0000000091A0: 699B9A88
	s_nop 0                                                    // 0000000091A4: BF800000
	v_cndmask_b32_e64 v69, v35, v69, s[36:37]                  // 0000000091A8: D1000045 00928B23
	v_cmp_lt_u32_e64 s[36:37], v206, v36                       // 0000000091B0: D0C90024 000249CE
	v_add_u32_e32 v206, 8, v206                                // 0000000091B8: 699D9C88
	s_nop 0                                                    // 0000000091BC: BF800000
	v_cndmask_b32_e64 v70, v35, v70, s[36:37]                  // 0000000091C0: D1000046 00928D23
	v_cmp_lt_u32_e64 s[36:37], v207, v36                       // 0000000091C8: D0C90024 000249CF
	v_add_u32_e32 v207, 8, v207                                // 0000000091D0: 699F9E88
	s_nop 0                                                    // 0000000091D4: BF800000
	v_cndmask_b32_e64 v71, v35, v71, s[36:37]                  // 0000000091D8: D1000047 00928F23
	v_cmp_lt_u32_e64 s[36:37], v204, v36                       // 0000000091E0: D0C90024 000249CC
	v_add_u32_e32 v204, 8, v204                                // 0000000091E8: 69999888
	s_nop 0                                                    // 0000000091EC: BF800000
	v_cndmask_b32_e64 v72, v35, v72, s[36:37]                  // 0000000091F0: D1000048 00929123
	v_cmp_lt_u32_e64 s[36:37], v205, v36                       // 0000000091F8: D0C90024 000249CD
	v_add_u32_e32 v205, 8, v205                                // 000000009200: 699B9A88
	s_nop 0                                                    // 000000009204: BF800000
	v_cndmask_b32_e64 v73, v35, v73, s[36:37]                  // 000000009208: D1000049 00929323
	v_cmp_lt_u32_e64 s[36:37], v206, v36                       // 000000009210: D0C90024 000249CE
	v_add_u32_e32 v206, 8, v206                                // 000000009218: 699D9C88
	s_nop 0                                                    // 00000000921C: BF800000
	v_cndmask_b32_e64 v74, v35, v74, s[36:37]                  // 000000009220: D100004A 00929523
	v_cmp_lt_u32_e64 s[36:37], v207, v36                       // 000000009228: D0C90024 000249CF
	v_add_u32_e32 v207, 8, v207                                // 000000009230: 699F9E88
	s_nop 0                                                    // 000000009234: BF800000
	v_cndmask_b32_e64 v75, v35, v75, s[36:37]                  // 000000009238: D100004B 00929723
	s_nop 2                                                    // 000000009240: BF800002
	v_mov_b32_e32 v213, v60                                    // 000000009244: 7FAA033C
	v_max3_f32 v213, v60, v61, v213                            // 000000009248: D1D300D5 07567B3C
	v_max3_f32 v213, v62, v63, v213                            // 000000009250: D1D300D5 07567F3E
	v_max3_f32 v213, v64, v65, v213                            // 000000009258: D1D300D5 07568340
	v_max3_f32 v213, v66, v67, v213                            // 000000009260: D1D300D5 07568742
	v_max3_f32 v213, v68, v69, v213                            // 000000009268: D1D300D5 07568B44
	v_max3_f32 v213, v70, v71, v213                            // 000000009270: D1D300D5 07568F46
	v_max3_f32 v213, v72, v73, v213                            // 000000009278: D1D300D5 07569348
	v_max3_f32 v213, v74, v75, v213                            // 000000009280: D1D300D5 0756974A
	v_mov_b32_e32 v35, v213                                    // 000000009288: 7E4603D5
	v_mov_b32_e32 v36, v213                                    // 00000000928C: 7E4803D5
	s_nop 1                                                    // 000000009290: BF800001
	v_permlane32_swap_b32_e32 v35, v36                         // 000000009294: 7E46B524
	v_max3_f32 v213, v35, v36, v213                            // 000000009298: D1D300D5 07564923
	ds_write_b32 v41, v213                                     // 0000000092A0: D81A0000 0000D529
	s_waitcnt lgkmcnt(0)                                       // 0000000092A8: BF8CC07F
	s_barrier                                                  // 0000000092AC: BF8A0000
	ds_read_b32 v35, v40                                       // 0000000092B0: D86C0000 23000028
	ds_read_b32 v36, v40 offset:256                            // 0000000092B8: D86C0100 24000028
	s_waitcnt lgkmcnt(0)                                       // 0000000092C0: BF8CC07F
	v_max3_f32 v213, v35, v36, v213                            // 0000000092C4: D1D300D5 07564923
	v_mov_b32_e32 v35, 0xff800000                              // 0000000092CC: 7E4602FF FF800000
	v_cmp_eq_u32_e64 s[36:37], v35, v2                         // 0000000092D4: D0CA0024 00020523
	v_max_f32_e32 v216, v213, v2                               // 0000000092DC: 17B005D5
	v_sub_f32_e32 v21, v2, v216                                // 0000000092E0: 042BB102
	v_cndmask_b32_e64 v21, v21, 0, s[36:37]                    // 0000000092E4: D1000015 00910115
	v_mov_b32_e32 v2, v216                                     // 0000000092EC: 7E0403D8
	v_mul_f32_e32 v212, s5, v216                               // 0000000092F0: 0BA9B005
	v_mul_f32_e32 v21, s5, v21                                 // 0000000092F4: 0A2A2A05
	v_exp_f32_e32 v21, v21                                     // 0000000092F8: 7E2A4115
	v_fma_f32 v60, v60, s5, -v212                              // 0000000092FC: D1CB003C 87500B3C
	v_fma_f32 v61, v61, s5, -v212                              // 000000009304: D1CB003D 87500B3D
	v_fma_f32 v62, v62, s5, -v212                              // 00000000930C: D1CB003E 87500B3E
	v_fma_f32 v63, v63, s5, -v212                              // 000000009314: D1CB003F 87500B3F
	v_fma_f32 v64, v64, s5, -v212                              // 00000000931C: D1CB0040 87500B40
	v_fma_f32 v65, v65, s5, -v212                              // 000000009324: D1CB0041 87500B41
	v_fma_f32 v66, v66, s5, -v212                              // 00000000932C: D1CB0042 87500B42
	v_fma_f32 v67, v67, s5, -v212                              // 000000009334: D1CB0043 87500B43
	v_fma_f32 v68, v68, s5, -v212                              // 00000000933C: D1CB0044 87500B44
	v_fma_f32 v69, v69, s5, -v212                              // 000000009344: D1CB0045 87500B45
	v_fma_f32 v70, v70, s5, -v212                              // 00000000934C: D1CB0046 87500B46
	v_fma_f32 v71, v71, s5, -v212                              // 000000009354: D1CB0047 87500B47
	v_fma_f32 v72, v72, s5, -v212                              // 00000000935C: D1CB0048 87500B48
	v_fma_f32 v73, v73, s5, -v212                              // 000000009364: D1CB0049 87500B49
	v_fma_f32 v74, v74, s5, -v212                              // 00000000936C: D1CB004A 87500B4A
	v_fma_f32 v75, v75, s5, -v212                              // 000000009374: D1CB004B 87500B4B
	v_mov_b32_e32 v35, 0xffc00000                              // 00000000937C: 7E4602FF FFC00000
	v_exp_f32_e32 v60, v60                                     // 000000009384: 7E78413C
	v_exp_f32_e32 v61, v61                                     // 000000009388: 7E7A413D
	v_exp_f32_e32 v62, v62                                     // 00000000938C: 7E7C413E
	v_exp_f32_e32 v63, v63                                     // 000000009390: 7E7E413F
	v_exp_f32_e32 v64, v64                                     // 000000009394: 7E804140
	v_exp_f32_e32 v65, v65                                     // 000000009398: 7E824141
	v_exp_f32_e32 v66, v66                                     // 00000000939C: 7E844142
	v_exp_f32_e32 v67, v67                                     // 0000000093A0: 7E864143
	v_exp_f32_e32 v68, v68                                     // 0000000093A4: 7E884144
	v_exp_f32_e32 v69, v69                                     // 0000000093A8: 7E8A4145
	v_exp_f32_e32 v70, v70                                     // 0000000093AC: 7E8C4146
	v_exp_f32_e32 v71, v71                                     // 0000000093B0: 7E8E4147
	v_exp_f32_e32 v72, v72                                     // 0000000093B4: 7E904148
	v_exp_f32_e32 v73, v73                                     // 0000000093B8: 7E924149
	v_exp_f32_e32 v74, v74                                     // 0000000093BC: 7E94414A
	v_exp_f32_e32 v75, v75                                     // 0000000093C0: 7E96414B
	v_mul_f32_e32 v4, v21, v4                                  // 0000000093C4: 0A080915
	v_mov_b32_e32 v35, v60                                     // 0000000093C8: 7E46033C
	v_add_f32_e32 v35, v61, v35                                // 0000000093CC: 0246473D
	v_add_f32_e32 v35, v62, v35                                // 0000000093D0: 0246473E
	v_add_f32_e32 v35, v63, v35                                // 0000000093D4: 0246473F
	v_add_f32_e32 v35, v64, v35                                // 0000000093D8: 02464740
	v_add_f32_e32 v35, v65, v35                                // 0000000093DC: 02464741
	v_add_f32_e32 v35, v66, v35                                // 0000000093E0: 02464742
	v_add_f32_e32 v35, v67, v35                                // 0000000093E4: 02464743
	v_add_f32_e32 v35, v68, v35                                // 0000000093E8: 02464744
	v_add_f32_e32 v35, v69, v35                                // 0000000093EC: 02464745
	v_add_f32_e32 v35, v70, v35                                // 0000000093F0: 02464746
	v_add_f32_e32 v35, v71, v35                                // 0000000093F4: 02464747
	v_add_f32_e32 v35, v72, v35                                // 0000000093F8: 02464748
	v_add_f32_e32 v35, v73, v35                                // 0000000093FC: 02464749
	v_add_f32_e32 v35, v74, v35                                // 000000009400: 0246474A
	v_add_f32_e32 v35, v75, v35                                // 000000009404: 0246474B
	v_add_f32_e32 v4, v35, v4                                  // 000000009408: 02080923
	v_cvt_pk_fp8_f32 v60, v60, v61                             // 00000000940C: D2A2003C 00027B3C
	v_cvt_pk_fp8_f32 v60, v62, v63 op_sel:[0,0,1]              // 000000009414: D2A2403C 00027F3E
	v_cvt_pk_fp8_f32 v61, v64, v65                             // 00000000941C: D2A2003D 00028340
	v_cvt_pk_fp8_f32 v61, v66, v67 op_sel:[0,0,1]              // 000000009424: D2A2403D 00028742
	v_cvt_pk_fp8_f32 v62, v68, v69                             // 00000000942C: D2A2003E 00028B44
	v_cvt_pk_fp8_f32 v62, v70, v71 op_sel:[0,0,1]              // 000000009434: D2A2403E 00028F46
	v_cvt_pk_fp8_f32 v63, v72, v73                             // 00000000943C: D2A2003F 00029348
	v_cvt_pk_fp8_f32 v63, v74, v75 op_sel:[0,0,1]              // 000000009444: D2A2403F 0002974A
	ds_write_b128 v43, v[60:63] offset:1024                    // 00000000944C: D9BE0400 00003C2B
	s_waitcnt lgkmcnt(0)                                       // 000000009454: BF8CC07F
	s_barrier                                                  // 000000009458: BF8A0000
	ds_read_b128 v[60:63], v42 offset:1024                     // 00000000945C: D9FE0400 3C00002A
	ds_read_b128 v[64:67], v42 offset:2048                     // 000000009464: D9FE0800 4000002A
	s_waitcnt lgkmcnt(0)                                       // 00000000946C: BF8CC07F
	v_permlane32_swap_b32_e32 v60, v62                         // 000000009470: 7E78B53E
	v_permlane32_swap_b32_e32 v61, v63                         // 000000009474: 7E7AB53F
	v_swap_b32 v61, v62                                        // 000000009478: 7E7AA33E
	v_permlane32_swap_b32_e32 v64, v66                         // 00000000947C: 7E80B542
	v_permlane32_swap_b32_e32 v65, v67                         // 000000009480: 7E82B543
	v_swap_b32 v65, v66                                        // 000000009484: 7E82A342
	v_mov_b32_e32 v36, v21                                     // 000000009488: 7E480315
	v_mov_b32_e32 v37, v21                                     // 00000000948C: 7E4A0315
	v_pk_mul_f32 v[76:77], v[36:37], v[76:77]                  // 000000009490: D3B1404C 18029924
	v_pk_mul_f32 v[78:79], v[36:37], v[78:79]                  // 000000009498: D3B1404E 18029D24
	v_pk_mul_f32 v[80:81], v[36:37], v[80:81]                  // 0000000094A0: D3B14050 1802A124
	v_pk_mul_f32 v[82:83], v[36:37], v[82:83]                  // 0000000094A8: D3B14052 1802A524
	v_pk_mul_f32 v[84:85], v[36:37], v[84:85]                  // 0000000094B0: D3B14054 1802A924
	v_pk_mul_f32 v[86:87], v[36:37], v[86:87]                  // 0000000094B8: D3B14056 1802AD24
	v_pk_mul_f32 v[88:89], v[36:37], v[88:89]                  // 0000000094C0: D3B14058 1802B124
	v_pk_mul_f32 v[90:91], v[36:37], v[90:91]                  // 0000000094C8: D3B1405A 1802B524
	v_pk_mul_f32 v[92:93], v[36:37], v[92:93]                  // 0000000094D0: D3B1405C 1802B924
	v_pk_mul_f32 v[94:95], v[36:37], v[94:95]                  // 0000000094D8: D3B1405E 1802BD24
	v_pk_mul_f32 v[96:97], v[36:37], v[96:97]                  // 0000000094E0: D3B14060 1802C124
	v_pk_mul_f32 v[98:99], v[36:37], v[98:99]                  // 0000000094E8: D3B14062 1802C524
	v_pk_mul_f32 v[100:101], v[36:37], v[100:101]              // 0000000094F0: D3B14064 1802C924
	v_pk_mul_f32 v[102:103], v[36:37], v[102:103]              // 0000000094F8: D3B14066 1802CD24
	v_pk_mul_f32 v[104:105], v[36:37], v[104:105]              // 000000009500: D3B14068 1802D124
	v_pk_mul_f32 v[106:107], v[36:37], v[106:107]              // 000000009508: D3B1406A 1802D524
	v_pk_mul_f32 v[108:109], v[36:37], v[108:109]              // 000000009510: D3B1406C 1802D924
	v_pk_mul_f32 v[110:111], v[36:37], v[110:111]              // 000000009518: D3B1406E 1802DD24
	v_pk_mul_f32 v[112:113], v[36:37], v[112:113]              // 000000009520: D3B14070 1802E124
	v_pk_mul_f32 v[114:115], v[36:37], v[114:115]              // 000000009528: D3B14072 1802E524
	v_pk_mul_f32 v[116:117], v[36:37], v[116:117]              // 000000009530: D3B14074 1802E924
	v_pk_mul_f32 v[118:119], v[36:37], v[118:119]              // 000000009538: D3B14076 1802ED24
	v_pk_mul_f32 v[120:121], v[36:37], v[120:121]              // 000000009540: D3B14078 1802F124
	v_pk_mul_f32 v[122:123], v[36:37], v[122:123]              // 000000009548: D3B1407A 1802F524
	v_pk_mul_f32 v[124:125], v[36:37], v[124:125]              // 000000009550: D3B1407C 1802F924
	v_pk_mul_f32 v[126:127], v[36:37], v[126:127]              // 000000009558: D3B1407E 1802FD24
	v_pk_mul_f32 v[128:129], v[36:37], v[128:129]              // 000000009560: D3B14080 18030124
	v_pk_mul_f32 v[130:131], v[36:37], v[130:131]              // 000000009568: D3B14082 18030524
	v_pk_mul_f32 v[132:133], v[36:37], v[132:133]              // 000000009570: D3B14084 18030924
	v_pk_mul_f32 v[134:135], v[36:37], v[134:135]              // 000000009578: D3B14086 18030D24
	v_pk_mul_f32 v[136:137], v[36:37], v[136:137]              // 000000009580: D3B14088 18031124
	v_pk_mul_f32 v[138:139], v[36:37], v[138:139]              // 000000009588: D3B1408A 18031524
	v_pk_mul_f32 v[140:141], v[36:37], v[140:141]              // 000000009590: D3B1408C 18031924
	v_pk_mul_f32 v[142:143], v[36:37], v[142:143]              // 000000009598: D3B1408E 18031D24
	v_pk_mul_f32 v[144:145], v[36:37], v[144:145]              // 0000000095A0: D3B14090 18032124
	v_pk_mul_f32 v[146:147], v[36:37], v[146:147]              // 0000000095A8: D3B14092 18032524
	v_pk_mul_f32 v[148:149], v[36:37], v[148:149]              // 0000000095B0: D3B14094 18032924
	v_pk_mul_f32 v[150:151], v[36:37], v[150:151]              // 0000000095B8: D3B14096 18032D24
	v_pk_mul_f32 v[152:153], v[36:37], v[152:153]              // 0000000095C0: D3B14098 18033124
	v_pk_mul_f32 v[154:155], v[36:37], v[154:155]              // 0000000095C8: D3B1409A 18033524
	v_pk_mul_f32 v[156:157], v[36:37], v[156:157]              // 0000000095D0: D3B1409C 18033924
	v_pk_mul_f32 v[158:159], v[36:37], v[158:159]              // 0000000095D8: D3B1409E 18033D24
	v_pk_mul_f32 v[160:161], v[36:37], v[160:161]              // 0000000095E0: D3B140A0 18034124
	v_pk_mul_f32 v[162:163], v[36:37], v[162:163]              // 0000000095E8: D3B140A2 18034524
	v_pk_mul_f32 v[164:165], v[36:37], v[164:165]              // 0000000095F0: D3B140A4 18034924
	v_pk_mul_f32 v[166:167], v[36:37], v[166:167]              // 0000000095F8: D3B140A6 18034D24
	v_pk_mul_f32 v[168:169], v[36:37], v[168:169]              // 000000009600: D3B140A8 18035124
	v_pk_mul_f32 v[170:171], v[36:37], v[170:171]              // 000000009608: D3B140AA 18035524
	v_pk_mul_f32 v[172:173], v[36:37], v[172:173]              // 000000009610: D3B140AC 18035924
	v_pk_mul_f32 v[174:175], v[36:37], v[174:175]              // 000000009618: D3B140AE 18035D24
	v_pk_mul_f32 v[176:177], v[36:37], v[176:177]              // 000000009620: D3B140B0 18036124
	v_pk_mul_f32 v[178:179], v[36:37], v[178:179]              // 000000009628: D3B140B2 18036524
	v_pk_mul_f32 v[180:181], v[36:37], v[180:181]              // 000000009630: D3B140B4 18036924
	v_pk_mul_f32 v[182:183], v[36:37], v[182:183]              // 000000009638: D3B140B6 18036D24
	v_pk_mul_f32 v[184:185], v[36:37], v[184:185]              // 000000009640: D3B140B8 18037124
	v_pk_mul_f32 v[186:187], v[36:37], v[186:187]              // 000000009648: D3B140BA 18037524
	v_pk_mul_f32 v[188:189], v[36:37], v[188:189]              // 000000009650: D3B140BC 18037924
	v_pk_mul_f32 v[190:191], v[36:37], v[190:191]              // 000000009658: D3B140BE 18037D24
	v_pk_mul_f32 v[192:193], v[36:37], v[192:193]              // 000000009660: D3B140C0 18038124
	v_pk_mul_f32 v[194:195], v[36:37], v[194:195]              // 000000009668: D3B140C2 18038524
	v_pk_mul_f32 v[196:197], v[36:37], v[196:197]              // 000000009670: D3B140C4 18038924
	v_pk_mul_f32 v[198:199], v[36:37], v[198:199]              // 000000009678: D3B140C6 18038D24
	v_pk_mul_f32 v[200:201], v[36:37], v[200:201]              // 000000009680: D3B140C8 18039124
	v_pk_mul_f32 v[202:203], v[36:37], v[202:203]              // 000000009688: D3B140CA 18039524
	v_mfma_f32_32x32x64_f8f6f4 v[76:91], a[72:79], v[60:67], v[76:91]// 000000009690: D3AE004C 0D327948
	v_mfma_f32_32x32x64_f8f6f4 v[92:107], a[80:87], v[60:67], v[92:107]// 000000009698: D3AE005C 0D727950
	v_mfma_f32_32x32x64_f8f6f4 v[108:123], a[88:95], v[60:67], v[108:123]// 0000000096A0: D3AE006C 0DB27958
	v_mfma_f32_32x32x64_f8f6f4 v[124:139], a[96:103], v[60:67], v[124:139]// 0000000096A8: D3AE007C 0DF27960
	v_mfma_f32_32x32x64_f8f6f4 v[140:155], a[104:111], v[60:67], v[140:155]// 0000000096B0: D3AE008C 0E327968
	v_mfma_f32_32x32x64_f8f6f4 v[156:171], a[112:119], v[60:67], v[156:171]// 0000000096B8: D3AE009C 0E727970
	v_mfma_f32_32x32x64_f8f6f4 v[172:187], a[120:127], v[60:67], v[172:187]// 0000000096C0: D3AE00AC 0EB27978
	v_mfma_f32_32x32x64_f8f6f4 v[188:203], a[128:135], v[60:67], v[188:203]// 0000000096C8: D3AE00BC 0EF27980
	s_nop 8                                                    // 0000000096D0: BF800008
	s_branch label_8AAC                                        // 0000000096D4: BF8205B5

00000000000096d8 <label_73D8>:
	s_waitcnt lgkmcnt(4)                                       // 0000000096D8: BF8CC47F
	v_mfma_f32_32x32x64_f8f6f4 v[44:59], a[72:79], a[0:7], 0   // 0000000096DC: D3AE002C 1A020148
	v_mfma_f32_32x32x64_f8f6f4 v[44:59], a[80:87], a[8:15], v[44:59]// 0000000096E4: D3AE002C 1CB21150
	v_mfma_f32_32x32x64_f8f6f4 v[44:59], a[88:95], a[16:23], v[44:59]// 0000000096EC: D3AE002C 1CB22158
	ds_read_b64_tr_b8 a[72:73], v17                            // 0000000096F4: DBC40000 48000011
	ds_read_b64_tr_b8 a[74:75], v18                            // 0000000096FC: DBC40000 4A000012
	ds_read_b64_tr_b8 a[76:77], v17 offset:18432               // 000000009704: DBC44800 4C000011
	ds_read_b64_tr_b8 a[78:79], v18 offset:18432               // 00000000970C: DBC44800 4E000012
	v_mfma_f32_32x32x64_f8f6f4 v[44:59], a[96:103], a[24:31], v[44:59]// 000000009714: D3AE002C 1CB23160
	ds_read_b64_tr_b8 a[80:81], v19                            // 00000000971C: DBC40000 50000013
	ds_read_b64_tr_b8 a[82:83], v20                            // 000000009724: DBC40000 52000014
	ds_read_b64_tr_b8 a[84:85], v19 offset:18432               // 00000000972C: DBC44800 54000013
	ds_read_b64_tr_b8 a[86:87], v20 offset:18432               // 000000009734: DBC44800 56000014
	v_mfma_f32_32x32x64_f8f6f4 v[44:59], a[104:111], a[32:39], v[44:59]// 00000000973C: D3AE002C 1CB24168
	ds_read_b64_tr_b8 a[88:89], v17 offset:1024                // 000000009744: DBC40400 58000011
	ds_read_b64_tr_b8 a[90:91], v18 offset:1024                // 00000000974C: DBC40400 5A000012
	ds_read_b64_tr_b8 a[92:93], v17 offset:19456               // 000000009754: DBC44C00 5C000011
	ds_read_b64_tr_b8 a[94:95], v18 offset:19456               // 00000000975C: DBC44C00 5E000012
	v_mfma_f32_32x32x64_f8f6f4 v[44:59], a[112:119], a[40:47], v[44:59]// 000000009764: D3AE002C 1CB25170
	ds_read_b64_tr_b8 a[96:97], v19 offset:1024                // 00000000976C: DBC40400 60000013
	ds_read_b64_tr_b8 a[98:99], v20 offset:1024                // 000000009774: DBC40400 62000014
	ds_read_b64_tr_b8 a[100:101], v19 offset:19456             // 00000000977C: DBC44C00 64000013
	ds_read_b64_tr_b8 a[102:103], v20 offset:19456             // 000000009784: DBC44C00 66000014
	v_mfma_f32_32x32x64_f8f6f4 v[44:59], a[120:127], a[48:55], v[44:59]// 00000000978C: D3AE002C 1CB26178
	ds_read_b64_tr_b8 a[104:105], v17 offset:2048              // 000000009794: DBC40800 68000011
	ds_read_b64_tr_b8 a[106:107], v18 offset:2048              // 00000000979C: DBC40800 6A000012
	ds_read_b64_tr_b8 a[108:109], v17 offset:20480             // 0000000097A4: DBC45000 6C000011
	ds_read_b64_tr_b8 a[110:111], v18 offset:20480             // 0000000097AC: DBC45000 6E000012
	v_mfma_f32_32x32x64_f8f6f4 v[44:59], a[128:135], a[56:63], v[44:59]// 0000000097B4: D3AE002C 1CB27180
	ds_read_b64_tr_b8 a[112:113], v19 offset:2048              // 0000000097BC: DBC40800 70000013
	ds_read_b64_tr_b8 a[114:115], v20 offset:2048              // 0000000097C4: DBC40800 72000014
	ds_read_b64_tr_b8 a[116:117], v19 offset:20480             // 0000000097CC: DBC45000 74000013
	ds_read_b64_tr_b8 a[118:119], v20 offset:20480             // 0000000097D4: DBC45000 76000014
	v_mfma_f32_32x32x64_f8f6f4 v[44:59], a[136:143], a[64:71], v[44:59]// 0000000097DC: D3AE002C 1CB28188
	ds_read_b64_tr_b8 a[120:121], v17 offset:3072              // 0000000097E4: DBC40C00 78000011
	ds_read_b64_tr_b8 a[122:123], v18 offset:3072              // 0000000097EC: DBC40C00 7A000012
	ds_read_b64_tr_b8 a[124:125], v17 offset:21504             // 0000000097F4: DBC45400 7C000011
	ds_read_b64_tr_b8 a[126:127], v18 offset:21504             // 0000000097FC: DBC45400 7E000012
	ds_read_b64_tr_b8 a[128:129], v19 offset:3072              // 000000009804: DBC40C00 80000013
	ds_read_b64_tr_b8 a[130:131], v20 offset:3072              // 00000000980C: DBC40C00 82000014
	ds_read_b64_tr_b8 a[132:133], v19 offset:21504             // 000000009814: DBC45400 84000013
	ds_read_b64_tr_b8 a[134:135], v20 offset:21504             // 00000000981C: DBC45400 86000014
	s_and_b32 s56, s48, 0xff                                   // 000000009824: 8638FF30 000000FF
	v_mov_b32_e32 v36, s56                                     // 00000000982C: 7E480238
	v_lshrrev_b32_e32 v204, 5, v0                              // 000000009830: 21980085
	v_mul_i32_i24_e32 v204, 4, v204                            // 000000009834: 0D999884
	s_and_b32 s56, s7, 1                                       // 000000009838: 86388107
	s_mov_b32 s57, 32                                          // 00000000983C: BEB900A0
	s_mul_i32 s56, s57, s56                                    // 000000009840: 92383839
	v_add_u32_e32 v204, s56, v204                              // 000000009844: 69999838
	v_add_u32_e32 v205, 1, v204                                // 000000009848: 699B9881
	v_add_u32_e32 v206, 2, v204                                // 00000000984C: 699D9882
	v_add_u32_e32 v207, 3, v204                                // 000000009850: 699F9883
	v_mov_b32_e32 v35, 0xff800000                              // 000000009854: 7E4602FF FF800000
	v_cmp_lt_u32_e64 s[36:37], v204, v36                       // 00000000985C: D0C90024 000249CC
	v_add_u32_e32 v204, 8, v204                                // 000000009864: 69999888
	s_nop 0                                                    // 000000009868: BF800000
	v_cndmask_b32_e64 v44, v35, v44, s[36:37]                  // 00000000986C: D100002C 00925923
	v_cmp_lt_u32_e64 s[36:37], v205, v36                       // 000000009874: D0C90024 000249CD
	v_add_u32_e32 v205, 8, v205                                // 00000000987C: 699B9A88
	s_nop 0                                                    // 000000009880: BF800000
	v_cndmask_b32_e64 v45, v35, v45, s[36:37]                  // 000000009884: D100002D 00925B23
	v_cmp_lt_u32_e64 s[36:37], v206, v36                       // 00000000988C: D0C90024 000249CE
	v_add_u32_e32 v206, 8, v206                                // 000000009894: 699D9C88
	s_nop 0                                                    // 000000009898: BF800000
	v_cndmask_b32_e64 v46, v35, v46, s[36:37]                  // 00000000989C: D100002E 00925D23
	v_cmp_lt_u32_e64 s[36:37], v207, v36                       // 0000000098A4: D0C90024 000249CF
	v_add_u32_e32 v207, 8, v207                                // 0000000098AC: 699F9E88
	s_nop 0                                                    // 0000000098B0: BF800000
	v_cndmask_b32_e64 v47, v35, v47, s[36:37]                  // 0000000098B4: D100002F 00925F23
	v_cmp_lt_u32_e64 s[36:37], v204, v36                       // 0000000098BC: D0C90024 000249CC
	v_add_u32_e32 v204, 8, v204                                // 0000000098C4: 69999888
	s_nop 0                                                    // 0000000098C8: BF800000
	v_cndmask_b32_e64 v48, v35, v48, s[36:37]                  // 0000000098CC: D1000030 00926123
	v_cmp_lt_u32_e64 s[36:37], v205, v36                       // 0000000098D4: D0C90024 000249CD
	v_add_u32_e32 v205, 8, v205                                // 0000000098DC: 699B9A88
	s_nop 0                                                    // 0000000098E0: BF800000
	v_cndmask_b32_e64 v49, v35, v49, s[36:37]                  // 0000000098E4: D1000031 00926323
	v_cmp_lt_u32_e64 s[36:37], v206, v36                       // 0000000098EC: D0C90024 000249CE
	v_add_u32_e32 v206, 8, v206                                // 0000000098F4: 699D9C88
	s_nop 0                                                    // 0000000098F8: BF800000
	v_cndmask_b32_e64 v50, v35, v50, s[36:37]                  // 0000000098FC: D1000032 00926523
	v_cmp_lt_u32_e64 s[36:37], v207, v36                       // 000000009904: D0C90024 000249CF
	v_add_u32_e32 v207, 8, v207                                // 00000000990C: 699F9E88
	s_nop 0                                                    // 000000009910: BF800000
	v_cndmask_b32_e64 v51, v35, v51, s[36:37]                  // 000000009914: D1000033 00926723
	v_cmp_lt_u32_e64 s[36:37], v204, v36                       // 00000000991C: D0C90024 000249CC
	v_add_u32_e32 v204, 8, v204                                // 000000009924: 69999888
	s_nop 0                                                    // 000000009928: BF800000
	v_cndmask_b32_e64 v52, v35, v52, s[36:37]                  // 00000000992C: D1000034 00926923
	v_cmp_lt_u32_e64 s[36:37], v205, v36                       // 000000009934: D0C90024 000249CD
	v_add_u32_e32 v205, 8, v205                                // 00000000993C: 699B9A88
	s_nop 0                                                    // 000000009940: BF800000
	v_cndmask_b32_e64 v53, v35, v53, s[36:37]                  // 000000009944: D1000035 00926B23
	v_cmp_lt_u32_e64 s[36:37], v206, v36                       // 00000000994C: D0C90024 000249CE
	v_add_u32_e32 v206, 8, v206                                // 000000009954: 699D9C88
	s_nop 0                                                    // 000000009958: BF800000
	v_cndmask_b32_e64 v54, v35, v54, s[36:37]                  // 00000000995C: D1000036 00926D23
	v_cmp_lt_u32_e64 s[36:37], v207, v36                       // 000000009964: D0C90024 000249CF
	v_add_u32_e32 v207, 8, v207                                // 00000000996C: 699F9E88
	s_nop 0                                                    // 000000009970: BF800000
	v_cndmask_b32_e64 v55, v35, v55, s[36:37]                  // 000000009974: D1000037 00926F23
	v_cmp_lt_u32_e64 s[36:37], v204, v36                       // 00000000997C: D0C90024 000249CC
	v_add_u32_e32 v204, 8, v204                                // 000000009984: 69999888
	s_nop 0                                                    // 000000009988: BF800000
	v_cndmask_b32_e64 v56, v35, v56, s[36:37]                  // 00000000998C: D1000038 00927123
	v_cmp_lt_u32_e64 s[36:37], v205, v36                       // 000000009994: D0C90024 000249CD
	v_add_u32_e32 v205, 8, v205                                // 00000000999C: 699B9A88
	s_nop 0                                                    // 0000000099A0: BF800000
	v_cndmask_b32_e64 v57, v35, v57, s[36:37]                  // 0000000099A4: D1000039 00927323
	v_cmp_lt_u32_e64 s[36:37], v206, v36                       // 0000000099AC: D0C90024 000249CE
	v_add_u32_e32 v206, 8, v206                                // 0000000099B4: 699D9C88
	s_nop 0                                                    // 0000000099B8: BF800000
	v_cndmask_b32_e64 v58, v35, v58, s[36:37]                  // 0000000099BC: D100003A 00927523
	v_cmp_lt_u32_e64 s[36:37], v207, v36                       // 0000000099C4: D0C90024 000249CF
	v_add_u32_e32 v207, 8, v207                                // 0000000099CC: 699F9E88
	s_nop 0                                                    // 0000000099D0: BF800000
	v_cndmask_b32_e64 v59, v35, v59, s[36:37]                  // 0000000099D4: D100003B 00927723
	s_nop 2                                                    // 0000000099DC: BF800002
	v_mov_b32_e32 v213, v44                                    // 0000000099E0: 7FAA032C
	v_max3_f32 v213, v44, v45, v213                            // 0000000099E4: D1D300D5 07565B2C
	v_max3_f32 v213, v46, v47, v213                            // 0000000099EC: D1D300D5 07565F2E
	v_max3_f32 v213, v48, v49, v213                            // 0000000099F4: D1D300D5 07566330
	v_max3_f32 v213, v50, v51, v213                            // 0000000099FC: D1D300D5 07566732
	v_max3_f32 v213, v52, v53, v213                            // 000000009A04: D1D300D5 07566B34
	v_max3_f32 v213, v54, v55, v213                            // 000000009A0C: D1D300D5 07566F36
	v_max3_f32 v213, v56, v57, v213                            // 000000009A14: D1D300D5 07567338
	v_max3_f32 v213, v58, v59, v213                            // 000000009A1C: D1D300D5 0756773A
	v_mov_b32_e32 v35, v213                                    // 000000009A24: 7E4603D5
	v_mov_b32_e32 v36, v213                                    // 000000009A28: 7E4803D5
	s_nop 1                                                    // 000000009A2C: BF800001
	v_permlane32_swap_b32_e32 v35, v36                         // 000000009A30: 7E46B524
	v_max3_f32 v213, v35, v36, v213                            // 000000009A34: D1D300D5 07564923
	ds_write_b32 v41, v213                                     // 000000009A3C: D81A0000 0000D529
	s_waitcnt lgkmcnt(0)                                       // 000000009A44: BF8CC07F
	s_barrier                                                  // 000000009A48: BF8A0000
	ds_read_b32 v35, v40                                       // 000000009A4C: D86C0000 23000028
	ds_read_b32 v36, v40 offset:256                            // 000000009A54: D86C0100 24000028
	s_waitcnt lgkmcnt(0)                                       // 000000009A5C: BF8CC07F
	v_max3_f32 v213, v35, v36, v213                            // 000000009A60: D1D300D5 07564923
	v_mov_b32_e32 v35, 0xff800000                              // 000000009A68: 7E4602FF FF800000
	v_cmp_eq_u32_e64 s[36:37], v35, v2                         // 000000009A70: D0CA0024 00020523
	v_max_f32_e32 v216, v213, v2                               // 000000009A78: 17B005D5
	v_sub_f32_e32 v21, v2, v216                                // 000000009A7C: 042BB102
	v_cndmask_b32_e64 v21, v21, 0, s[36:37]                    // 000000009A80: D1000015 00910115
	v_mov_b32_e32 v2, v216                                     // 000000009A88: 7E0403D8
	v_mul_f32_e32 v212, s5, v216                               // 000000009A8C: 0BA9B005
	v_mul_f32_e32 v21, s5, v21                                 // 000000009A90: 0A2A2A05
	v_exp_f32_e32 v21, v21                                     // 000000009A94: 7E2A4115
	v_fma_f32 v44, v44, s5, -v212                              // 000000009A98: D1CB002C 87500B2C
	v_fma_f32 v45, v45, s5, -v212                              // 000000009AA0: D1CB002D 87500B2D
	v_fma_f32 v46, v46, s5, -v212                              // 000000009AA8: D1CB002E 87500B2E
	v_fma_f32 v47, v47, s5, -v212                              // 000000009AB0: D1CB002F 87500B2F
	v_fma_f32 v48, v48, s5, -v212                              // 000000009AB8: D1CB0030 87500B30
	v_fma_f32 v49, v49, s5, -v212                              // 000000009AC0: D1CB0031 87500B31
	v_fma_f32 v50, v50, s5, -v212                              // 000000009AC8: D1CB0032 87500B32
	v_fma_f32 v51, v51, s5, -v212                              // 000000009AD0: D1CB0033 87500B33
	v_fma_f32 v52, v52, s5, -v212                              // 000000009AD8: D1CB0034 87500B34
	v_fma_f32 v53, v53, s5, -v212                              // 000000009AE0: D1CB0035 87500B35
	v_fma_f32 v54, v54, s5, -v212                              // 000000009AE8: D1CB0036 87500B36
	v_fma_f32 v55, v55, s5, -v212                              // 000000009AF0: D1CB0037 87500B37
	v_fma_f32 v56, v56, s5, -v212                              // 000000009AF8: D1CB0038 87500B38
	v_fma_f32 v57, v57, s5, -v212                              // 000000009B00: D1CB0039 87500B39
	v_fma_f32 v58, v58, s5, -v212                              // 000000009B08: D1CB003A 87500B3A
	v_fma_f32 v59, v59, s5, -v212                              // 000000009B10: D1CB003B 87500B3B
	v_mov_b32_e32 v35, 0xffc00000                              // 000000009B18: 7E4602FF FFC00000
	v_exp_f32_e32 v44, v44                                     // 000000009B20: 7E58412C
	v_exp_f32_e32 v45, v45                                     // 000000009B24: 7E5A412D
	v_exp_f32_e32 v46, v46                                     // 000000009B28: 7E5C412E
	v_exp_f32_e32 v47, v47                                     // 000000009B2C: 7E5E412F
	v_exp_f32_e32 v48, v48                                     // 000000009B30: 7E604130
	v_exp_f32_e32 v49, v49                                     // 000000009B34: 7E624131
	v_exp_f32_e32 v50, v50                                     // 000000009B38: 7E644132
	v_exp_f32_e32 v51, v51                                     // 000000009B3C: 7E664133
	v_exp_f32_e32 v52, v52                                     // 000000009B40: 7E684134
	v_exp_f32_e32 v53, v53                                     // 000000009B44: 7E6A4135
	v_exp_f32_e32 v54, v54                                     // 000000009B48: 7E6C4136
	v_exp_f32_e32 v55, v55                                     // 000000009B4C: 7E6E4137
	v_exp_f32_e32 v56, v56                                     // 000000009B50: 7E704138
	v_exp_f32_e32 v57, v57                                     // 000000009B54: 7E724139
	v_exp_f32_e32 v58, v58                                     // 000000009B58: 7E74413A
	v_exp_f32_e32 v59, v59                                     // 000000009B5C: 7E76413B
	v_mul_f32_e32 v4, v21, v4                                  // 000000009B60: 0A080915
	v_mov_b32_e32 v35, v44                                     // 000000009B64: 7E46032C
	v_add_f32_e32 v35, v45, v35                                // 000000009B68: 0246472D
	v_add_f32_e32 v35, v46, v35                                // 000000009B6C: 0246472E
	v_add_f32_e32 v35, v47, v35                                // 000000009B70: 0246472F
	v_add_f32_e32 v35, v48, v35                                // 000000009B74: 02464730
	v_add_f32_e32 v35, v49, v35                                // 000000009B78: 02464731
	v_add_f32_e32 v35, v50, v35                                // 000000009B7C: 02464732
	v_add_f32_e32 v35, v51, v35                                // 000000009B80: 02464733
	v_add_f32_e32 v35, v52, v35                                // 000000009B84: 02464734
	v_add_f32_e32 v35, v53, v35                                // 000000009B88: 02464735
	v_add_f32_e32 v35, v54, v35                                // 000000009B8C: 02464736
	v_add_f32_e32 v35, v55, v35                                // 000000009B90: 02464737
	v_add_f32_e32 v35, v56, v35                                // 000000009B94: 02464738
	v_add_f32_e32 v35, v57, v35                                // 000000009B98: 02464739
	v_add_f32_e32 v35, v58, v35                                // 000000009B9C: 0246473A
	v_add_f32_e32 v35, v59, v35                                // 000000009BA0: 0246473B
	v_add_f32_e32 v4, v35, v4                                  // 000000009BA4: 02080923
	v_cvt_pk_fp8_f32 v44, v44, v45                             // 000000009BA8: D2A2002C 00025B2C
	v_cvt_pk_fp8_f32 v44, v46, v47 op_sel:[0,0,1]              // 000000009BB0: D2A2402C 00025F2E
	v_cvt_pk_fp8_f32 v45, v48, v49                             // 000000009BB8: D2A2002D 00026330
	v_cvt_pk_fp8_f32 v45, v50, v51 op_sel:[0,0,1]              // 000000009BC0: D2A2402D 00026732
	v_cvt_pk_fp8_f32 v46, v52, v53                             // 000000009BC8: D2A2002E 00026B34
	v_cvt_pk_fp8_f32 v46, v54, v55 op_sel:[0,0,1]              // 000000009BD0: D2A2402E 00026F36
	v_cvt_pk_fp8_f32 v47, v56, v57                             // 000000009BD8: D2A2002F 00027338
	v_cvt_pk_fp8_f32 v47, v58, v59 op_sel:[0,0,1]              // 000000009BE0: D2A2402F 0002773A
	ds_write_b128 v43, v[44:47] offset:1024                    // 000000009BE8: D9BE0400 00002C2B
	s_waitcnt lgkmcnt(0)                                       // 000000009BF0: BF8CC07F
	s_barrier                                                  // 000000009BF4: BF8A0000
	ds_read_b128 v[44:47], v42 offset:1024                     // 000000009BF8: D9FE0400 2C00002A
	ds_read_b128 v[48:51], v42 offset:2048                     // 000000009C00: D9FE0800 3000002A
	s_waitcnt lgkmcnt(0)                                       // 000000009C08: BF8CC07F
	v_permlane32_swap_b32_e32 v44, v46                         // 000000009C0C: 7E58B52E
	v_permlane32_swap_b32_e32 v45, v47                         // 000000009C10: 7E5AB52F
	v_swap_b32 v45, v46                                        // 000000009C14: 7E5AA32E
	v_permlane32_swap_b32_e32 v48, v50                         // 000000009C18: 7E60B532
	v_permlane32_swap_b32_e32 v49, v51                         // 000000009C1C: 7E62B533
	v_swap_b32 v49, v50                                        // 000000009C20: 7E62A332
	v_mov_b32_e32 v36, v21                                     // 000000009C24: 7E480315
	v_mov_b32_e32 v37, v21                                     // 000000009C28: 7E4A0315
	v_pk_mul_f32 v[76:77], v[36:37], v[76:77]                  // 000000009C2C: D3B1404C 18029924
	v_pk_mul_f32 v[78:79], v[36:37], v[78:79]                  // 000000009C34: D3B1404E 18029D24
	v_pk_mul_f32 v[80:81], v[36:37], v[80:81]                  // 000000009C3C: D3B14050 1802A124
	v_pk_mul_f32 v[82:83], v[36:37], v[82:83]                  // 000000009C44: D3B14052 1802A524
	v_pk_mul_f32 v[84:85], v[36:37], v[84:85]                  // 000000009C4C: D3B14054 1802A924
	v_pk_mul_f32 v[86:87], v[36:37], v[86:87]                  // 000000009C54: D3B14056 1802AD24
	v_pk_mul_f32 v[88:89], v[36:37], v[88:89]                  // 000000009C5C: D3B14058 1802B124
	v_pk_mul_f32 v[90:91], v[36:37], v[90:91]                  // 000000009C64: D3B1405A 1802B524
	v_pk_mul_f32 v[92:93], v[36:37], v[92:93]                  // 000000009C6C: D3B1405C 1802B924
	v_pk_mul_f32 v[94:95], v[36:37], v[94:95]                  // 000000009C74: D3B1405E 1802BD24
	v_pk_mul_f32 v[96:97], v[36:37], v[96:97]                  // 000000009C7C: D3B14060 1802C124
	v_pk_mul_f32 v[98:99], v[36:37], v[98:99]                  // 000000009C84: D3B14062 1802C524
	v_pk_mul_f32 v[100:101], v[36:37], v[100:101]              // 000000009C8C: D3B14064 1802C924
	v_pk_mul_f32 v[102:103], v[36:37], v[102:103]              // 000000009C94: D3B14066 1802CD24
	v_pk_mul_f32 v[104:105], v[36:37], v[104:105]              // 000000009C9C: D3B14068 1802D124
	v_pk_mul_f32 v[106:107], v[36:37], v[106:107]              // 000000009CA4: D3B1406A 1802D524
	v_pk_mul_f32 v[108:109], v[36:37], v[108:109]              // 000000009CAC: D3B1406C 1802D924
	v_pk_mul_f32 v[110:111], v[36:37], v[110:111]              // 000000009CB4: D3B1406E 1802DD24
	v_pk_mul_f32 v[112:113], v[36:37], v[112:113]              // 000000009CBC: D3B14070 1802E124
	v_pk_mul_f32 v[114:115], v[36:37], v[114:115]              // 000000009CC4: D3B14072 1802E524
	v_pk_mul_f32 v[116:117], v[36:37], v[116:117]              // 000000009CCC: D3B14074 1802E924
	v_pk_mul_f32 v[118:119], v[36:37], v[118:119]              // 000000009CD4: D3B14076 1802ED24
	v_pk_mul_f32 v[120:121], v[36:37], v[120:121]              // 000000009CDC: D3B14078 1802F124
	v_pk_mul_f32 v[122:123], v[36:37], v[122:123]              // 000000009CE4: D3B1407A 1802F524
	v_pk_mul_f32 v[124:125], v[36:37], v[124:125]              // 000000009CEC: D3B1407C 1802F924
	v_pk_mul_f32 v[126:127], v[36:37], v[126:127]              // 000000009CF4: D3B1407E 1802FD24
	v_pk_mul_f32 v[128:129], v[36:37], v[128:129]              // 000000009CFC: D3B14080 18030124
	v_pk_mul_f32 v[130:131], v[36:37], v[130:131]              // 000000009D04: D3B14082 18030524
	v_pk_mul_f32 v[132:133], v[36:37], v[132:133]              // 000000009D0C: D3B14084 18030924
	v_pk_mul_f32 v[134:135], v[36:37], v[134:135]              // 000000009D14: D3B14086 18030D24
	v_pk_mul_f32 v[136:137], v[36:37], v[136:137]              // 000000009D1C: D3B14088 18031124
	v_pk_mul_f32 v[138:139], v[36:37], v[138:139]              // 000000009D24: D3B1408A 18031524
	v_pk_mul_f32 v[140:141], v[36:37], v[140:141]              // 000000009D2C: D3B1408C 18031924
	v_pk_mul_f32 v[142:143], v[36:37], v[142:143]              // 000000009D34: D3B1408E 18031D24
	v_pk_mul_f32 v[144:145], v[36:37], v[144:145]              // 000000009D3C: D3B14090 18032124
	v_pk_mul_f32 v[146:147], v[36:37], v[146:147]              // 000000009D44: D3B14092 18032524
	v_pk_mul_f32 v[148:149], v[36:37], v[148:149]              // 000000009D4C: D3B14094 18032924
	v_pk_mul_f32 v[150:151], v[36:37], v[150:151]              // 000000009D54: D3B14096 18032D24
	v_pk_mul_f32 v[152:153], v[36:37], v[152:153]              // 000000009D5C: D3B14098 18033124
	v_pk_mul_f32 v[154:155], v[36:37], v[154:155]              // 000000009D64: D3B1409A 18033524
	v_pk_mul_f32 v[156:157], v[36:37], v[156:157]              // 000000009D6C: D3B1409C 18033924
	v_pk_mul_f32 v[158:159], v[36:37], v[158:159]              // 000000009D74: D3B1409E 18033D24
	v_pk_mul_f32 v[160:161], v[36:37], v[160:161]              // 000000009D7C: D3B140A0 18034124
	v_pk_mul_f32 v[162:163], v[36:37], v[162:163]              // 000000009D84: D3B140A2 18034524
	v_pk_mul_f32 v[164:165], v[36:37], v[164:165]              // 000000009D8C: D3B140A4 18034924
	v_pk_mul_f32 v[166:167], v[36:37], v[166:167]              // 000000009D94: D3B140A6 18034D24
	v_pk_mul_f32 v[168:169], v[36:37], v[168:169]              // 000000009D9C: D3B140A8 18035124
	v_pk_mul_f32 v[170:171], v[36:37], v[170:171]              // 000000009DA4: D3B140AA 18035524
	v_pk_mul_f32 v[172:173], v[36:37], v[172:173]              // 000000009DAC: D3B140AC 18035924
	v_pk_mul_f32 v[174:175], v[36:37], v[174:175]              // 000000009DB4: D3B140AE 18035D24
	v_pk_mul_f32 v[176:177], v[36:37], v[176:177]              // 000000009DBC: D3B140B0 18036124
	v_pk_mul_f32 v[178:179], v[36:37], v[178:179]              // 000000009DC4: D3B140B2 18036524
	v_pk_mul_f32 v[180:181], v[36:37], v[180:181]              // 000000009DCC: D3B140B4 18036924
	v_pk_mul_f32 v[182:183], v[36:37], v[182:183]              // 000000009DD4: D3B140B6 18036D24
	v_pk_mul_f32 v[184:185], v[36:37], v[184:185]              // 000000009DDC: D3B140B8 18037124
	v_pk_mul_f32 v[186:187], v[36:37], v[186:187]              // 000000009DE4: D3B140BA 18037524
	v_pk_mul_f32 v[188:189], v[36:37], v[188:189]              // 000000009DEC: D3B140BC 18037924
	v_pk_mul_f32 v[190:191], v[36:37], v[190:191]              // 000000009DF4: D3B140BE 18037D24
	v_pk_mul_f32 v[192:193], v[36:37], v[192:193]              // 000000009DFC: D3B140C0 18038124
	v_pk_mul_f32 v[194:195], v[36:37], v[194:195]              // 000000009E04: D3B140C2 18038524
	v_pk_mul_f32 v[196:197], v[36:37], v[196:197]              // 000000009E0C: D3B140C4 18038924
	v_pk_mul_f32 v[198:199], v[36:37], v[198:199]              // 000000009E14: D3B140C6 18038D24
	v_pk_mul_f32 v[200:201], v[36:37], v[200:201]              // 000000009E1C: D3B140C8 18039124
	v_pk_mul_f32 v[202:203], v[36:37], v[202:203]              // 000000009E24: D3B140CA 18039524
	v_mfma_f32_32x32x64_f8f6f4 v[76:91], a[72:79], v[44:51], v[76:91]// 000000009E2C: D3AE004C 0D325948
	v_mfma_f32_32x32x64_f8f6f4 v[92:107], a[80:87], v[44:51], v[92:107]// 000000009E34: D3AE005C 0D725950
	v_mfma_f32_32x32x64_f8f6f4 v[108:123], a[88:95], v[44:51], v[108:123]// 000000009E3C: D3AE006C 0DB25958
	v_mfma_f32_32x32x64_f8f6f4 v[124:139], a[96:103], v[44:51], v[124:139]// 000000009E44: D3AE007C 0DF25960
	v_mfma_f32_32x32x64_f8f6f4 v[140:155], a[104:111], v[44:51], v[140:155]// 000000009E4C: D3AE008C 0E325968
	v_mfma_f32_32x32x64_f8f6f4 v[156:171], a[112:119], v[44:51], v[156:171]// 000000009E54: D3AE009C 0E725970
	v_mfma_f32_32x32x64_f8f6f4 v[172:187], a[120:127], v[44:51], v[172:187]// 000000009E5C: D3AE00AC 0EB25978
	v_mfma_f32_32x32x64_f8f6f4 v[188:203], a[128:135], v[44:51], v[188:203]// 000000009E64: D3AE00BC 0EF25980
	s_nop 8                                                    // 000000009E6C: BF800008
	s_branch label_8AAC                                        // 000000009E70: BF8203CE

0000000000009e74 <label_7B74>:
	s_waitcnt lgkmcnt(4)                                       // 000000009E74: BF8CC47F
	v_mfma_f32_32x32x64_f8f6f4 v[60:75], a[72:79], a[0:7], 0   // 000000009E78: D3AE003C 1A020148
	v_mfma_f32_32x32x64_f8f6f4 v[60:75], a[80:87], a[8:15], v[60:75]// 000000009E80: D3AE003C 1CF21150
	v_mfma_f32_32x32x64_f8f6f4 v[60:75], a[88:95], a[16:23], v[60:75]// 000000009E88: D3AE003C 1CF22158
	ds_read_b64_tr_b8 a[72:73], v5                             // 000000009E90: DBC40000 48000005
	ds_read_b64_tr_b8 a[74:75], v6                             // 000000009E98: DBC40000 4A000006
	ds_read_b64_tr_b8 a[76:77], v5 offset:18432                // 000000009EA0: DBC44800 4C000005
	ds_read_b64_tr_b8 a[78:79], v6 offset:18432                // 000000009EA8: DBC44800 4E000006
	v_mfma_f32_32x32x64_f8f6f4 v[60:75], a[96:103], a[24:31], v[60:75]// 000000009EB0: D3AE003C 1CF23160
	ds_read_b64_tr_b8 a[80:81], v7                             // 000000009EB8: DBC40000 50000007
	ds_read_b64_tr_b8 a[82:83], v8                             // 000000009EC0: DBC40000 52000008
	ds_read_b64_tr_b8 a[84:85], v7 offset:18432                // 000000009EC8: DBC44800 54000007
	ds_read_b64_tr_b8 a[86:87], v8 offset:18432                // 000000009ED0: DBC44800 56000008
	v_mfma_f32_32x32x64_f8f6f4 v[60:75], a[104:111], a[32:39], v[60:75]// 000000009ED8: D3AE003C 1CF24168
	ds_read_b64_tr_b8 a[88:89], v5 offset:1024                 // 000000009EE0: DBC40400 58000005
	ds_read_b64_tr_b8 a[90:91], v6 offset:1024                 // 000000009EE8: DBC40400 5A000006
	ds_read_b64_tr_b8 a[92:93], v5 offset:19456                // 000000009EF0: DBC44C00 5C000005
	ds_read_b64_tr_b8 a[94:95], v6 offset:19456                // 000000009EF8: DBC44C00 5E000006
	v_mfma_f32_32x32x64_f8f6f4 v[60:75], a[112:119], a[40:47], v[60:75]// 000000009F00: D3AE003C 1CF25170
	ds_read_b64_tr_b8 a[96:97], v7 offset:1024                 // 000000009F08: DBC40400 60000007
	ds_read_b64_tr_b8 a[98:99], v8 offset:1024                 // 000000009F10: DBC40400 62000008
	ds_read_b64_tr_b8 a[100:101], v7 offset:19456              // 000000009F18: DBC44C00 64000007
	ds_read_b64_tr_b8 a[102:103], v8 offset:19456              // 000000009F20: DBC44C00 66000008
	v_mfma_f32_32x32x64_f8f6f4 v[60:75], a[120:127], a[48:55], v[60:75]// 000000009F28: D3AE003C 1CF26178
	ds_read_b64_tr_b8 a[104:105], v5 offset:2048               // 000000009F30: DBC40800 68000005
	ds_read_b64_tr_b8 a[106:107], v6 offset:2048               // 000000009F38: DBC40800 6A000006
	ds_read_b64_tr_b8 a[108:109], v5 offset:20480              // 000000009F40: DBC45000 6C000005
	ds_read_b64_tr_b8 a[110:111], v6 offset:20480              // 000000009F48: DBC45000 6E000006
	v_mfma_f32_32x32x64_f8f6f4 v[60:75], a[128:135], a[56:63], v[60:75]// 000000009F50: D3AE003C 1CF27180
	ds_read_b64_tr_b8 a[112:113], v7 offset:2048               // 000000009F58: DBC40800 70000007
	ds_read_b64_tr_b8 a[114:115], v8 offset:2048               // 000000009F60: DBC40800 72000008
	ds_read_b64_tr_b8 a[116:117], v7 offset:20480              // 000000009F68: DBC45000 74000007
	ds_read_b64_tr_b8 a[118:119], v8 offset:20480              // 000000009F70: DBC45000 76000008
	v_mfma_f32_32x32x64_f8f6f4 v[60:75], a[136:143], a[64:71], v[60:75]// 000000009F78: D3AE003C 1CF28188
	ds_read_b64_tr_b8 a[120:121], v5 offset:3072               // 000000009F80: DBC40C00 78000005
	ds_read_b64_tr_b8 a[122:123], v6 offset:3072               // 000000009F88: DBC40C00 7A000006
	ds_read_b64_tr_b8 a[124:125], v5 offset:21504              // 000000009F90: DBC45400 7C000005
	ds_read_b64_tr_b8 a[126:127], v6 offset:21504              // 000000009F98: DBC45400 7E000006
	ds_read_b64_tr_b8 a[128:129], v7 offset:3072               // 000000009FA0: DBC40C00 80000007
	ds_read_b64_tr_b8 a[130:131], v8 offset:3072               // 000000009FA8: DBC40C00 82000008
	ds_read_b64_tr_b8 a[132:133], v7 offset:21504              // 000000009FB0: DBC45400 84000007
	ds_read_b64_tr_b8 a[134:135], v8 offset:21504              // 000000009FB8: DBC45400 86000008
	s_and_b32 s56, s48, 0xff                                   // 000000009FC0: 8638FF30 000000FF
	v_mov_b32_e32 v36, s56                                     // 000000009FC8: 7E480238
	v_lshrrev_b32_e32 v204, 5, v0                              // 000000009FCC: 21980085
	v_mul_i32_i24_e32 v204, 4, v204                            // 000000009FD0: 0D999884
	s_and_b32 s56, s7, 1                                       // 000000009FD4: 86388107
	s_mov_b32 s57, 32                                          // 000000009FD8: BEB900A0
	s_mul_i32 s56, s57, s56                                    // 000000009FDC: 92383839
	v_add_u32_e32 v204, s56, v204                              // 000000009FE0: 69999838
	v_add_u32_e32 v205, 1, v204                                // 000000009FE4: 699B9881
	v_add_u32_e32 v206, 2, v204                                // 000000009FE8: 699D9882
	v_add_u32_e32 v207, 3, v204                                // 000000009FEC: 699F9883
	v_mov_b32_e32 v35, 0xff800000                              // 000000009FF0: 7E4602FF FF800000
	v_cmp_lt_u32_e64 s[36:37], v204, v36                       // 000000009FF8: D0C90024 000249CC
	v_add_u32_e32 v204, 8, v204                                // 00000000A000: 69999888
	s_nop 0                                                    // 00000000A004: BF800000
	v_cndmask_b32_e64 v60, v35, v60, s[36:37]                  // 00000000A008: D100003C 00927923
	v_cmp_lt_u32_e64 s[36:37], v205, v36                       // 00000000A010: D0C90024 000249CD
	v_add_u32_e32 v205, 8, v205                                // 00000000A018: 699B9A88
	s_nop 0                                                    // 00000000A01C: BF800000
	v_cndmask_b32_e64 v61, v35, v61, s[36:37]                  // 00000000A020: D100003D 00927B23
	v_cmp_lt_u32_e64 s[36:37], v206, v36                       // 00000000A028: D0C90024 000249CE
	v_add_u32_e32 v206, 8, v206                                // 00000000A030: 699D9C88
	s_nop 0                                                    // 00000000A034: BF800000
	v_cndmask_b32_e64 v62, v35, v62, s[36:37]                  // 00000000A038: D100003E 00927D23
	v_cmp_lt_u32_e64 s[36:37], v207, v36                       // 00000000A040: D0C90024 000249CF
	v_add_u32_e32 v207, 8, v207                                // 00000000A048: 699F9E88
	s_nop 0                                                    // 00000000A04C: BF800000
	v_cndmask_b32_e64 v63, v35, v63, s[36:37]                  // 00000000A050: D100003F 00927F23
	v_cmp_lt_u32_e64 s[36:37], v204, v36                       // 00000000A058: D0C90024 000249CC
	v_add_u32_e32 v204, 8, v204                                // 00000000A060: 69999888
	s_nop 0                                                    // 00000000A064: BF800000
	v_cndmask_b32_e64 v64, v35, v64, s[36:37]                  // 00000000A068: D1000040 00928123
	v_cmp_lt_u32_e64 s[36:37], v205, v36                       // 00000000A070: D0C90024 000249CD
	v_add_u32_e32 v205, 8, v205                                // 00000000A078: 699B9A88
	s_nop 0                                                    // 00000000A07C: BF800000
	v_cndmask_b32_e64 v65, v35, v65, s[36:37]                  // 00000000A080: D1000041 00928323
	v_cmp_lt_u32_e64 s[36:37], v206, v36                       // 00000000A088: D0C90024 000249CE
	v_add_u32_e32 v206, 8, v206                                // 00000000A090: 699D9C88
	s_nop 0                                                    // 00000000A094: BF800000
	v_cndmask_b32_e64 v66, v35, v66, s[36:37]                  // 00000000A098: D1000042 00928523
	v_cmp_lt_u32_e64 s[36:37], v207, v36                       // 00000000A0A0: D0C90024 000249CF
	v_add_u32_e32 v207, 8, v207                                // 00000000A0A8: 699F9E88
	s_nop 0                                                    // 00000000A0AC: BF800000
	v_cndmask_b32_e64 v67, v35, v67, s[36:37]                  // 00000000A0B0: D1000043 00928723
	v_cmp_lt_u32_e64 s[36:37], v204, v36                       // 00000000A0B8: D0C90024 000249CC
	v_add_u32_e32 v204, 8, v204                                // 00000000A0C0: 69999888
	s_nop 0                                                    // 00000000A0C4: BF800000
	v_cndmask_b32_e64 v68, v35, v68, s[36:37]                  // 00000000A0C8: D1000044 00928923
	v_cmp_lt_u32_e64 s[36:37], v205, v36                       // 00000000A0D0: D0C90024 000249CD
	v_add_u32_e32 v205, 8, v205                                // 00000000A0D8: 699B9A88
	s_nop 0                                                    // 00000000A0DC: BF800000
	v_cndmask_b32_e64 v69, v35, v69, s[36:37]                  // 00000000A0E0: D1000045 00928B23
	v_cmp_lt_u32_e64 s[36:37], v206, v36                       // 00000000A0E8: D0C90024 000249CE
	v_add_u32_e32 v206, 8, v206                                // 00000000A0F0: 699D9C88
	s_nop 0                                                    // 00000000A0F4: BF800000
	v_cndmask_b32_e64 v70, v35, v70, s[36:37]                  // 00000000A0F8: D1000046 00928D23
	v_cmp_lt_u32_e64 s[36:37], v207, v36                       // 00000000A100: D0C90024 000249CF
	v_add_u32_e32 v207, 8, v207                                // 00000000A108: 699F9E88
	s_nop 0                                                    // 00000000A10C: BF800000
	v_cndmask_b32_e64 v71, v35, v71, s[36:37]                  // 00000000A110: D1000047 00928F23
	v_cmp_lt_u32_e64 s[36:37], v204, v36                       // 00000000A118: D0C90024 000249CC
	v_add_u32_e32 v204, 8, v204                                // 00000000A120: 69999888
	s_nop 0                                                    // 00000000A124: BF800000
	v_cndmask_b32_e64 v72, v35, v72, s[36:37]                  // 00000000A128: D1000048 00929123
	v_cmp_lt_u32_e64 s[36:37], v205, v36                       // 00000000A130: D0C90024 000249CD
	v_add_u32_e32 v205, 8, v205                                // 00000000A138: 699B9A88
	s_nop 0                                                    // 00000000A13C: BF800000
	v_cndmask_b32_e64 v73, v35, v73, s[36:37]                  // 00000000A140: D1000049 00929323
	v_cmp_lt_u32_e64 s[36:37], v206, v36                       // 00000000A148: D0C90024 000249CE
	v_add_u32_e32 v206, 8, v206                                // 00000000A150: 699D9C88
	s_nop 0                                                    // 00000000A154: BF800000
	v_cndmask_b32_e64 v74, v35, v74, s[36:37]                  // 00000000A158: D100004A 00929523
	v_cmp_lt_u32_e64 s[36:37], v207, v36                       // 00000000A160: D0C90024 000249CF
	v_add_u32_e32 v207, 8, v207                                // 00000000A168: 699F9E88
	s_nop 0                                                    // 00000000A16C: BF800000
	v_cndmask_b32_e64 v75, v35, v75, s[36:37]                  // 00000000A170: D100004B 00929723
	s_nop 2                                                    // 00000000A178: BF800002
	v_mov_b32_e32 v213, v60                                    // 00000000A17C: 7FAA033C
	v_max3_f32 v213, v60, v61, v213                            // 00000000A180: D1D300D5 07567B3C
	v_max3_f32 v213, v62, v63, v213                            // 00000000A188: D1D300D5 07567F3E
	v_max3_f32 v213, v64, v65, v213                            // 00000000A190: D1D300D5 07568340
	v_max3_f32 v213, v66, v67, v213                            // 00000000A198: D1D300D5 07568742
	v_max3_f32 v213, v68, v69, v213                            // 00000000A1A0: D1D300D5 07568B44
	v_max3_f32 v213, v70, v71, v213                            // 00000000A1A8: D1D300D5 07568F46
	v_max3_f32 v213, v72, v73, v213                            // 00000000A1B0: D1D300D5 07569348
	v_max3_f32 v213, v74, v75, v213                            // 00000000A1B8: D1D300D5 0756974A
	v_mov_b32_e32 v35, v213                                    // 00000000A1C0: 7E4603D5
	v_mov_b32_e32 v36, v213                                    // 00000000A1C4: 7E4803D5
	s_nop 1                                                    // 00000000A1C8: BF800001
	v_permlane32_swap_b32_e32 v35, v36                         // 00000000A1CC: 7E46B524
	v_max3_f32 v213, v35, v36, v213                            // 00000000A1D0: D1D300D5 07564923
	ds_write_b32 v41, v213                                     // 00000000A1D8: D81A0000 0000D529
	s_waitcnt lgkmcnt(0)                                       // 00000000A1E0: BF8CC07F
	s_barrier                                                  // 00000000A1E4: BF8A0000
	ds_read_b32 v35, v40                                       // 00000000A1E8: D86C0000 23000028
	ds_read_b32 v36, v40 offset:256                            // 00000000A1F0: D86C0100 24000028
	s_waitcnt lgkmcnt(0)                                       // 00000000A1F8: BF8CC07F
	v_max3_f32 v213, v35, v36, v213                            // 00000000A1FC: D1D300D5 07564923
	v_mov_b32_e32 v35, 0xff800000                              // 00000000A204: 7E4602FF FF800000
	v_cmp_eq_u32_e64 s[36:37], v35, v2                         // 00000000A20C: D0CA0024 00020523
	v_max_f32_e32 v216, v213, v2                               // 00000000A214: 17B005D5
	v_sub_f32_e32 v21, v2, v216                                // 00000000A218: 042BB102
	v_cndmask_b32_e64 v21, v21, 0, s[36:37]                    // 00000000A21C: D1000015 00910115
	v_mov_b32_e32 v2, v216                                     // 00000000A224: 7E0403D8
	v_mul_f32_e32 v212, s5, v216                               // 00000000A228: 0BA9B005
	v_mul_f32_e32 v21, s5, v21                                 // 00000000A22C: 0A2A2A05
	v_exp_f32_e32 v21, v21                                     // 00000000A230: 7E2A4115
	v_fma_f32 v60, v60, s5, -v212                              // 00000000A234: D1CB003C 87500B3C
	v_fma_f32 v61, v61, s5, -v212                              // 00000000A23C: D1CB003D 87500B3D
	v_fma_f32 v62, v62, s5, -v212                              // 00000000A244: D1CB003E 87500B3E
	v_fma_f32 v63, v63, s5, -v212                              // 00000000A24C: D1CB003F 87500B3F
	v_fma_f32 v64, v64, s5, -v212                              // 00000000A254: D1CB0040 87500B40
	v_fma_f32 v65, v65, s5, -v212                              // 00000000A25C: D1CB0041 87500B41
	v_fma_f32 v66, v66, s5, -v212                              // 00000000A264: D1CB0042 87500B42
	v_fma_f32 v67, v67, s5, -v212                              // 00000000A26C: D1CB0043 87500B43
	v_fma_f32 v68, v68, s5, -v212                              // 00000000A274: D1CB0044 87500B44
	v_fma_f32 v69, v69, s5, -v212                              // 00000000A27C: D1CB0045 87500B45
	v_fma_f32 v70, v70, s5, -v212                              // 00000000A284: D1CB0046 87500B46
	v_fma_f32 v71, v71, s5, -v212                              // 00000000A28C: D1CB0047 87500B47
	v_fma_f32 v72, v72, s5, -v212                              // 00000000A294: D1CB0048 87500B48
	v_fma_f32 v73, v73, s5, -v212                              // 00000000A29C: D1CB0049 87500B49
	v_fma_f32 v74, v74, s5, -v212                              // 00000000A2A4: D1CB004A 87500B4A
	v_fma_f32 v75, v75, s5, -v212                              // 00000000A2AC: D1CB004B 87500B4B
	v_mov_b32_e32 v35, 0xffc00000                              // 00000000A2B4: 7E4602FF FFC00000
	v_exp_f32_e32 v60, v60                                     // 00000000A2BC: 7E78413C
	v_exp_f32_e32 v61, v61                                     // 00000000A2C0: 7E7A413D
	v_exp_f32_e32 v62, v62                                     // 00000000A2C4: 7E7C413E
	v_exp_f32_e32 v63, v63                                     // 00000000A2C8: 7E7E413F
	v_exp_f32_e32 v64, v64                                     // 00000000A2CC: 7E804140
	v_exp_f32_e32 v65, v65                                     // 00000000A2D0: 7E824141
	v_exp_f32_e32 v66, v66                                     // 00000000A2D4: 7E844142
	v_exp_f32_e32 v67, v67                                     // 00000000A2D8: 7E864143
	v_exp_f32_e32 v68, v68                                     // 00000000A2DC: 7E884144
	v_exp_f32_e32 v69, v69                                     // 00000000A2E0: 7E8A4145
	v_exp_f32_e32 v70, v70                                     // 00000000A2E4: 7E8C4146
	v_exp_f32_e32 v71, v71                                     // 00000000A2E8: 7E8E4147
	v_exp_f32_e32 v72, v72                                     // 00000000A2EC: 7E904148
	v_exp_f32_e32 v73, v73                                     // 00000000A2F0: 7E924149
	v_exp_f32_e32 v74, v74                                     // 00000000A2F4: 7E94414A
	v_exp_f32_e32 v75, v75                                     // 00000000A2F8: 7E96414B
	v_mul_f32_e32 v4, v21, v4                                  // 00000000A2FC: 0A080915
	v_mov_b32_e32 v35, v60                                     // 00000000A300: 7E46033C
	v_add_f32_e32 v35, v61, v35                                // 00000000A304: 0246473D
	v_add_f32_e32 v35, v62, v35                                // 00000000A308: 0246473E
	v_add_f32_e32 v35, v63, v35                                // 00000000A30C: 0246473F
	v_add_f32_e32 v35, v64, v35                                // 00000000A310: 02464740
	v_add_f32_e32 v35, v65, v35                                // 00000000A314: 02464741
	v_add_f32_e32 v35, v66, v35                                // 00000000A318: 02464742
	v_add_f32_e32 v35, v67, v35                                // 00000000A31C: 02464743
	v_add_f32_e32 v35, v68, v35                                // 00000000A320: 02464744
	v_add_f32_e32 v35, v69, v35                                // 00000000A324: 02464745
	v_add_f32_e32 v35, v70, v35                                // 00000000A328: 02464746
	v_add_f32_e32 v35, v71, v35                                // 00000000A32C: 02464747
	v_add_f32_e32 v35, v72, v35                                // 00000000A330: 02464748
	v_add_f32_e32 v35, v73, v35                                // 00000000A334: 02464749
	v_add_f32_e32 v35, v74, v35                                // 00000000A338: 0246474A
	v_add_f32_e32 v35, v75, v35                                // 00000000A33C: 0246474B
	v_add_f32_e32 v4, v35, v4                                  // 00000000A340: 02080923
	v_cvt_pk_fp8_f32 v60, v60, v61                             // 00000000A344: D2A2003C 00027B3C
	v_cvt_pk_fp8_f32 v60, v62, v63 op_sel:[0,0,1]              // 00000000A34C: D2A2403C 00027F3E
	v_cvt_pk_fp8_f32 v61, v64, v65                             // 00000000A354: D2A2003D 00028340
	v_cvt_pk_fp8_f32 v61, v66, v67 op_sel:[0,0,1]              // 00000000A35C: D2A2403D 00028742
	v_cvt_pk_fp8_f32 v62, v68, v69                             // 00000000A364: D2A2003E 00028B44
	v_cvt_pk_fp8_f32 v62, v70, v71 op_sel:[0,0,1]              // 00000000A36C: D2A2403E 00028F46
	v_cvt_pk_fp8_f32 v63, v72, v73                             // 00000000A374: D2A2003F 00029348
	v_cvt_pk_fp8_f32 v63, v74, v75 op_sel:[0,0,1]              // 00000000A37C: D2A2403F 0002974A
	ds_write_b128 v43, v[60:63] offset:1024                    // 00000000A384: D9BE0400 00003C2B
	s_waitcnt lgkmcnt(0)                                       // 00000000A38C: BF8CC07F
	s_barrier                                                  // 00000000A390: BF8A0000
	ds_read_b128 v[60:63], v42 offset:1024                     // 00000000A394: D9FE0400 3C00002A
	ds_read_b128 v[64:67], v42 offset:2048                     // 00000000A39C: D9FE0800 4000002A
	s_waitcnt lgkmcnt(0)                                       // 00000000A3A4: BF8CC07F
	v_permlane32_swap_b32_e32 v60, v62                         // 00000000A3A8: 7E78B53E
	v_permlane32_swap_b32_e32 v61, v63                         // 00000000A3AC: 7E7AB53F
	v_swap_b32 v61, v62                                        // 00000000A3B0: 7E7AA33E
	v_permlane32_swap_b32_e32 v64, v66                         // 00000000A3B4: 7E80B542
	v_permlane32_swap_b32_e32 v65, v67                         // 00000000A3B8: 7E82B543
	v_swap_b32 v65, v66                                        // 00000000A3BC: 7E82A342
	v_mov_b32_e32 v36, v21                                     // 00000000A3C0: 7E480315
	v_mov_b32_e32 v37, v21                                     // 00000000A3C4: 7E4A0315
	v_pk_mul_f32 v[76:77], v[36:37], v[76:77]                  // 00000000A3C8: D3B1404C 18029924
	v_pk_mul_f32 v[78:79], v[36:37], v[78:79]                  // 00000000A3D0: D3B1404E 18029D24
	v_pk_mul_f32 v[80:81], v[36:37], v[80:81]                  // 00000000A3D8: D3B14050 1802A124
	v_pk_mul_f32 v[82:83], v[36:37], v[82:83]                  // 00000000A3E0: D3B14052 1802A524
	v_pk_mul_f32 v[84:85], v[36:37], v[84:85]                  // 00000000A3E8: D3B14054 1802A924
	v_pk_mul_f32 v[86:87], v[36:37], v[86:87]                  // 00000000A3F0: D3B14056 1802AD24
	v_pk_mul_f32 v[88:89], v[36:37], v[88:89]                  // 00000000A3F8: D3B14058 1802B124
	v_pk_mul_f32 v[90:91], v[36:37], v[90:91]                  // 00000000A400: D3B1405A 1802B524
	v_pk_mul_f32 v[92:93], v[36:37], v[92:93]                  // 00000000A408: D3B1405C 1802B924
	v_pk_mul_f32 v[94:95], v[36:37], v[94:95]                  // 00000000A410: D3B1405E 1802BD24
	v_pk_mul_f32 v[96:97], v[36:37], v[96:97]                  // 00000000A418: D3B14060 1802C124
	v_pk_mul_f32 v[98:99], v[36:37], v[98:99]                  // 00000000A420: D3B14062 1802C524
	v_pk_mul_f32 v[100:101], v[36:37], v[100:101]              // 00000000A428: D3B14064 1802C924
	v_pk_mul_f32 v[102:103], v[36:37], v[102:103]              // 00000000A430: D3B14066 1802CD24
	v_pk_mul_f32 v[104:105], v[36:37], v[104:105]              // 00000000A438: D3B14068 1802D124
	v_pk_mul_f32 v[106:107], v[36:37], v[106:107]              // 00000000A440: D3B1406A 1802D524
	v_pk_mul_f32 v[108:109], v[36:37], v[108:109]              // 00000000A448: D3B1406C 1802D924
	v_pk_mul_f32 v[110:111], v[36:37], v[110:111]              // 00000000A450: D3B1406E 1802DD24
	v_pk_mul_f32 v[112:113], v[36:37], v[112:113]              // 00000000A458: D3B14070 1802E124
	v_pk_mul_f32 v[114:115], v[36:37], v[114:115]              // 00000000A460: D3B14072 1802E524
	v_pk_mul_f32 v[116:117], v[36:37], v[116:117]              // 00000000A468: D3B14074 1802E924
	v_pk_mul_f32 v[118:119], v[36:37], v[118:119]              // 00000000A470: D3B14076 1802ED24
	v_pk_mul_f32 v[120:121], v[36:37], v[120:121]              // 00000000A478: D3B14078 1802F124
	v_pk_mul_f32 v[122:123], v[36:37], v[122:123]              // 00000000A480: D3B1407A 1802F524
	v_pk_mul_f32 v[124:125], v[36:37], v[124:125]              // 00000000A488: D3B1407C 1802F924
	v_pk_mul_f32 v[126:127], v[36:37], v[126:127]              // 00000000A490: D3B1407E 1802FD24
	v_pk_mul_f32 v[128:129], v[36:37], v[128:129]              // 00000000A498: D3B14080 18030124
	v_pk_mul_f32 v[130:131], v[36:37], v[130:131]              // 00000000A4A0: D3B14082 18030524
	v_pk_mul_f32 v[132:133], v[36:37], v[132:133]              // 00000000A4A8: D3B14084 18030924
	v_pk_mul_f32 v[134:135], v[36:37], v[134:135]              // 00000000A4B0: D3B14086 18030D24
	v_pk_mul_f32 v[136:137], v[36:37], v[136:137]              // 00000000A4B8: D3B14088 18031124
	v_pk_mul_f32 v[138:139], v[36:37], v[138:139]              // 00000000A4C0: D3B1408A 18031524
	v_pk_mul_f32 v[140:141], v[36:37], v[140:141]              // 00000000A4C8: D3B1408C 18031924
	v_pk_mul_f32 v[142:143], v[36:37], v[142:143]              // 00000000A4D0: D3B1408E 18031D24
	v_pk_mul_f32 v[144:145], v[36:37], v[144:145]              // 00000000A4D8: D3B14090 18032124
	v_pk_mul_f32 v[146:147], v[36:37], v[146:147]              // 00000000A4E0: D3B14092 18032524
	v_pk_mul_f32 v[148:149], v[36:37], v[148:149]              // 00000000A4E8: D3B14094 18032924
	v_pk_mul_f32 v[150:151], v[36:37], v[150:151]              // 00000000A4F0: D3B14096 18032D24
	v_pk_mul_f32 v[152:153], v[36:37], v[152:153]              // 00000000A4F8: D3B14098 18033124
	v_pk_mul_f32 v[154:155], v[36:37], v[154:155]              // 00000000A500: D3B1409A 18033524
	v_pk_mul_f32 v[156:157], v[36:37], v[156:157]              // 00000000A508: D3B1409C 18033924
	v_pk_mul_f32 v[158:159], v[36:37], v[158:159]              // 00000000A510: D3B1409E 18033D24
	v_pk_mul_f32 v[160:161], v[36:37], v[160:161]              // 00000000A518: D3B140A0 18034124
	v_pk_mul_f32 v[162:163], v[36:37], v[162:163]              // 00000000A520: D3B140A2 18034524
	v_pk_mul_f32 v[164:165], v[36:37], v[164:165]              // 00000000A528: D3B140A4 18034924
	v_pk_mul_f32 v[166:167], v[36:37], v[166:167]              // 00000000A530: D3B140A6 18034D24
	v_pk_mul_f32 v[168:169], v[36:37], v[168:169]              // 00000000A538: D3B140A8 18035124
	v_pk_mul_f32 v[170:171], v[36:37], v[170:171]              // 00000000A540: D3B140AA 18035524
	v_pk_mul_f32 v[172:173], v[36:37], v[172:173]              // 00000000A548: D3B140AC 18035924
	v_pk_mul_f32 v[174:175], v[36:37], v[174:175]              // 00000000A550: D3B140AE 18035D24
	v_pk_mul_f32 v[176:177], v[36:37], v[176:177]              // 00000000A558: D3B140B0 18036124
	v_pk_mul_f32 v[178:179], v[36:37], v[178:179]              // 00000000A560: D3B140B2 18036524
	v_pk_mul_f32 v[180:181], v[36:37], v[180:181]              // 00000000A568: D3B140B4 18036924
	v_pk_mul_f32 v[182:183], v[36:37], v[182:183]              // 00000000A570: D3B140B6 18036D24
	v_pk_mul_f32 v[184:185], v[36:37], v[184:185]              // 00000000A578: D3B140B8 18037124
	v_pk_mul_f32 v[186:187], v[36:37], v[186:187]              // 00000000A580: D3B140BA 18037524
	v_pk_mul_f32 v[188:189], v[36:37], v[188:189]              // 00000000A588: D3B140BC 18037924
	v_pk_mul_f32 v[190:191], v[36:37], v[190:191]              // 00000000A590: D3B140BE 18037D24
	v_pk_mul_f32 v[192:193], v[36:37], v[192:193]              // 00000000A598: D3B140C0 18038124
	v_pk_mul_f32 v[194:195], v[36:37], v[194:195]              // 00000000A5A0: D3B140C2 18038524
	v_pk_mul_f32 v[196:197], v[36:37], v[196:197]              // 00000000A5A8: D3B140C4 18038924
	v_pk_mul_f32 v[198:199], v[36:37], v[198:199]              // 00000000A5B0: D3B140C6 18038D24
	v_pk_mul_f32 v[200:201], v[36:37], v[200:201]              // 00000000A5B8: D3B140C8 18039124
	v_pk_mul_f32 v[202:203], v[36:37], v[202:203]              // 00000000A5C0: D3B140CA 18039524
	v_mfma_f32_32x32x64_f8f6f4 v[76:91], a[72:79], v[60:67], v[76:91]// 00000000A5C8: D3AE004C 0D327948
	v_mfma_f32_32x32x64_f8f6f4 v[92:107], a[80:87], v[60:67], v[92:107]// 00000000A5D0: D3AE005C 0D727950
	v_mfma_f32_32x32x64_f8f6f4 v[108:123], a[88:95], v[60:67], v[108:123]// 00000000A5D8: D3AE006C 0DB27958
	v_mfma_f32_32x32x64_f8f6f4 v[124:139], a[96:103], v[60:67], v[124:139]// 00000000A5E0: D3AE007C 0DF27960
	v_mfma_f32_32x32x64_f8f6f4 v[140:155], a[104:111], v[60:67], v[140:155]// 00000000A5E8: D3AE008C 0E327968
	v_mfma_f32_32x32x64_f8f6f4 v[156:171], a[112:119], v[60:67], v[156:171]// 00000000A5F0: D3AE009C 0E727970
	v_mfma_f32_32x32x64_f8f6f4 v[172:187], a[120:127], v[60:67], v[172:187]// 00000000A5F8: D3AE00AC 0EB27978
	v_mfma_f32_32x32x64_f8f6f4 v[188:203], a[128:135], v[60:67], v[188:203]// 00000000A600: D3AE00BC 0EF27980
	s_nop 8                                                    // 00000000A608: BF800008
	s_branch label_8AAC                                        // 00000000A60C: BF8201E7

000000000000a610 <label_8310>:
	s_waitcnt lgkmcnt(4)                                       // 00000000A610: BF8CC47F
	v_mfma_f32_32x32x64_f8f6f4 v[44:59], a[72:79], a[0:7], 0   // 00000000A614: D3AE002C 1A020148
	v_mfma_f32_32x32x64_f8f6f4 v[44:59], a[80:87], a[8:15], v[44:59]// 00000000A61C: D3AE002C 1CB21150
	v_mfma_f32_32x32x64_f8f6f4 v[44:59], a[88:95], a[16:23], v[44:59]// 00000000A624: D3AE002C 1CB22158
	ds_read_b64_tr_b8 a[72:73], v9                             // 00000000A62C: DBC40000 48000009
	ds_read_b64_tr_b8 a[74:75], v10                            // 00000000A634: DBC40000 4A00000A
	ds_read_b64_tr_b8 a[76:77], v9 offset:18432                // 00000000A63C: DBC44800 4C000009
	ds_read_b64_tr_b8 a[78:79], v10 offset:18432               // 00000000A644: DBC44800 4E00000A
	v_mfma_f32_32x32x64_f8f6f4 v[44:59], a[96:103], a[24:31], v[44:59]// 00000000A64C: D3AE002C 1CB23160
	ds_read_b64_tr_b8 a[80:81], v11                            // 00000000A654: DBC40000 5000000B
	ds_read_b64_tr_b8 a[82:83], v12                            // 00000000A65C: DBC40000 5200000C
	ds_read_b64_tr_b8 a[84:85], v11 offset:18432               // 00000000A664: DBC44800 5400000B
	ds_read_b64_tr_b8 a[86:87], v12 offset:18432               // 00000000A66C: DBC44800 5600000C
	v_mfma_f32_32x32x64_f8f6f4 v[44:59], a[104:111], a[32:39], v[44:59]// 00000000A674: D3AE002C 1CB24168
	ds_read_b64_tr_b8 a[88:89], v9 offset:1024                 // 00000000A67C: DBC40400 58000009
	ds_read_b64_tr_b8 a[90:91], v10 offset:1024                // 00000000A684: DBC40400 5A00000A
	ds_read_b64_tr_b8 a[92:93], v9 offset:19456                // 00000000A68C: DBC44C00 5C000009
	ds_read_b64_tr_b8 a[94:95], v10 offset:19456               // 00000000A694: DBC44C00 5E00000A
	v_mfma_f32_32x32x64_f8f6f4 v[44:59], a[112:119], a[40:47], v[44:59]// 00000000A69C: D3AE002C 1CB25170
	ds_read_b64_tr_b8 a[96:97], v11 offset:1024                // 00000000A6A4: DBC40400 6000000B
	ds_read_b64_tr_b8 a[98:99], v12 offset:1024                // 00000000A6AC: DBC40400 6200000C
	ds_read_b64_tr_b8 a[100:101], v11 offset:19456             // 00000000A6B4: DBC44C00 6400000B
	ds_read_b64_tr_b8 a[102:103], v12 offset:19456             // 00000000A6BC: DBC44C00 6600000C
	v_mfma_f32_32x32x64_f8f6f4 v[44:59], a[120:127], a[48:55], v[44:59]// 00000000A6C4: D3AE002C 1CB26178
	ds_read_b64_tr_b8 a[104:105], v9 offset:2048               // 00000000A6CC: DBC40800 68000009
	ds_read_b64_tr_b8 a[106:107], v10 offset:2048              // 00000000A6D4: DBC40800 6A00000A
	ds_read_b64_tr_b8 a[108:109], v9 offset:20480              // 00000000A6DC: DBC45000 6C000009
	ds_read_b64_tr_b8 a[110:111], v10 offset:20480             // 00000000A6E4: DBC45000 6E00000A
	v_mfma_f32_32x32x64_f8f6f4 v[44:59], a[128:135], a[56:63], v[44:59]// 00000000A6EC: D3AE002C 1CB27180
	ds_read_b64_tr_b8 a[112:113], v11 offset:2048              // 00000000A6F4: DBC40800 7000000B
	ds_read_b64_tr_b8 a[114:115], v12 offset:2048              // 00000000A6FC: DBC40800 7200000C
	ds_read_b64_tr_b8 a[116:117], v11 offset:20480             // 00000000A704: DBC45000 7400000B
	ds_read_b64_tr_b8 a[118:119], v12 offset:20480             // 00000000A70C: DBC45000 7600000C
	v_mfma_f32_32x32x64_f8f6f4 v[44:59], a[136:143], a[64:71], v[44:59]// 00000000A714: D3AE002C 1CB28188
	ds_read_b64_tr_b8 a[120:121], v9 offset:3072               // 00000000A71C: DBC40C00 78000009
	ds_read_b64_tr_b8 a[122:123], v10 offset:3072              // 00000000A724: DBC40C00 7A00000A
	ds_read_b64_tr_b8 a[124:125], v9 offset:21504              // 00000000A72C: DBC45400 7C000009
	ds_read_b64_tr_b8 a[126:127], v10 offset:21504             // 00000000A734: DBC45400 7E00000A
	ds_read_b64_tr_b8 a[128:129], v11 offset:3072              // 00000000A73C: DBC40C00 8000000B
	ds_read_b64_tr_b8 a[130:131], v12 offset:3072              // 00000000A744: DBC40C00 8200000C
	ds_read_b64_tr_b8 a[132:133], v11 offset:21504             // 00000000A74C: DBC45400 8400000B
	ds_read_b64_tr_b8 a[134:135], v12 offset:21504             // 00000000A754: DBC45400 8600000C
	s_and_b32 s56, s48, 0xff                                   // 00000000A75C: 8638FF30 000000FF
	v_mov_b32_e32 v36, s56                                     // 00000000A764: 7E480238
	v_lshrrev_b32_e32 v204, 5, v0                              // 00000000A768: 21980085
	v_mul_i32_i24_e32 v204, 4, v204                            // 00000000A76C: 0D999884
	s_and_b32 s56, s7, 1                                       // 00000000A770: 86388107
	s_mov_b32 s57, 32                                          // 00000000A774: BEB900A0
	s_mul_i32 s56, s57, s56                                    // 00000000A778: 92383839
	v_add_u32_e32 v204, s56, v204                              // 00000000A77C: 69999838
	v_add_u32_e32 v205, 1, v204                                // 00000000A780: 699B9881
	v_add_u32_e32 v206, 2, v204                                // 00000000A784: 699D9882
	v_add_u32_e32 v207, 3, v204                                // 00000000A788: 699F9883
	v_mov_b32_e32 v35, 0xff800000                              // 00000000A78C: 7E4602FF FF800000
	v_cmp_lt_u32_e64 s[36:37], v204, v36                       // 00000000A794: D0C90024 000249CC
	v_add_u32_e32 v204, 8, v204                                // 00000000A79C: 69999888
	s_nop 0                                                    // 00000000A7A0: BF800000
	v_cndmask_b32_e64 v44, v35, v44, s[36:37]                  // 00000000A7A4: D100002C 00925923
	v_cmp_lt_u32_e64 s[36:37], v205, v36                       // 00000000A7AC: D0C90024 000249CD
	v_add_u32_e32 v205, 8, v205                                // 00000000A7B4: 699B9A88
	s_nop 0                                                    // 00000000A7B8: BF800000
	v_cndmask_b32_e64 v45, v35, v45, s[36:37]                  // 00000000A7BC: D100002D 00925B23
	v_cmp_lt_u32_e64 s[36:37], v206, v36                       // 00000000A7C4: D0C90024 000249CE
	v_add_u32_e32 v206, 8, v206                                // 00000000A7CC: 699D9C88
	s_nop 0                                                    // 00000000A7D0: BF800000
	v_cndmask_b32_e64 v46, v35, v46, s[36:37]                  // 00000000A7D4: D100002E 00925D23
	v_cmp_lt_u32_e64 s[36:37], v207, v36                       // 00000000A7DC: D0C90024 000249CF
	v_add_u32_e32 v207, 8, v207                                // 00000000A7E4: 699F9E88
	s_nop 0                                                    // 00000000A7E8: BF800000
	v_cndmask_b32_e64 v47, v35, v47, s[36:37]                  // 00000000A7EC: D100002F 00925F23
	v_cmp_lt_u32_e64 s[36:37], v204, v36                       // 00000000A7F4: D0C90024 000249CC
	v_add_u32_e32 v204, 8, v204                                // 00000000A7FC: 69999888
	s_nop 0                                                    // 00000000A800: BF800000
	v_cndmask_b32_e64 v48, v35, v48, s[36:37]                  // 00000000A804: D1000030 00926123
	v_cmp_lt_u32_e64 s[36:37], v205, v36                       // 00000000A80C: D0C90024 000249CD
	v_add_u32_e32 v205, 8, v205                                // 00000000A814: 699B9A88
	s_nop 0                                                    // 00000000A818: BF800000
	v_cndmask_b32_e64 v49, v35, v49, s[36:37]                  // 00000000A81C: D1000031 00926323
	v_cmp_lt_u32_e64 s[36:37], v206, v36                       // 00000000A824: D0C90024 000249CE
	v_add_u32_e32 v206, 8, v206                                // 00000000A82C: 699D9C88
	s_nop 0                                                    // 00000000A830: BF800000
	v_cndmask_b32_e64 v50, v35, v50, s[36:37]                  // 00000000A834: D1000032 00926523
	v_cmp_lt_u32_e64 s[36:37], v207, v36                       // 00000000A83C: D0C90024 000249CF
	v_add_u32_e32 v207, 8, v207                                // 00000000A844: 699F9E88
	s_nop 0                                                    // 00000000A848: BF800000
	v_cndmask_b32_e64 v51, v35, v51, s[36:37]                  // 00000000A84C: D1000033 00926723
	v_cmp_lt_u32_e64 s[36:37], v204, v36                       // 00000000A854: D0C90024 000249CC
	v_add_u32_e32 v204, 8, v204                                // 00000000A85C: 69999888
	s_nop 0                                                    // 00000000A860: BF800000
	v_cndmask_b32_e64 v52, v35, v52, s[36:37]                  // 00000000A864: D1000034 00926923
	v_cmp_lt_u32_e64 s[36:37], v205, v36                       // 00000000A86C: D0C90024 000249CD
	v_add_u32_e32 v205, 8, v205                                // 00000000A874: 699B9A88
	s_nop 0                                                    // 00000000A878: BF800000
	v_cndmask_b32_e64 v53, v35, v53, s[36:37]                  // 00000000A87C: D1000035 00926B23
	v_cmp_lt_u32_e64 s[36:37], v206, v36                       // 00000000A884: D0C90024 000249CE
	v_add_u32_e32 v206, 8, v206                                // 00000000A88C: 699D9C88
	s_nop 0                                                    // 00000000A890: BF800000
	v_cndmask_b32_e64 v54, v35, v54, s[36:37]                  // 00000000A894: D1000036 00926D23
	v_cmp_lt_u32_e64 s[36:37], v207, v36                       // 00000000A89C: D0C90024 000249CF
	v_add_u32_e32 v207, 8, v207                                // 00000000A8A4: 699F9E88
	s_nop 0                                                    // 00000000A8A8: BF800000
	v_cndmask_b32_e64 v55, v35, v55, s[36:37]                  // 00000000A8AC: D1000037 00926F23
	v_cmp_lt_u32_e64 s[36:37], v204, v36                       // 00000000A8B4: D0C90024 000249CC
	v_add_u32_e32 v204, 8, v204                                // 00000000A8BC: 69999888
	s_nop 0                                                    // 00000000A8C0: BF800000
	v_cndmask_b32_e64 v56, v35, v56, s[36:37]                  // 00000000A8C4: D1000038 00927123
	v_cmp_lt_u32_e64 s[36:37], v205, v36                       // 00000000A8CC: D0C90024 000249CD
	v_add_u32_e32 v205, 8, v205                                // 00000000A8D4: 699B9A88
	s_nop 0                                                    // 00000000A8D8: BF800000
	v_cndmask_b32_e64 v57, v35, v57, s[36:37]                  // 00000000A8DC: D1000039 00927323
	v_cmp_lt_u32_e64 s[36:37], v206, v36                       // 00000000A8E4: D0C90024 000249CE
	v_add_u32_e32 v206, 8, v206                                // 00000000A8EC: 699D9C88
	s_nop 0                                                    // 00000000A8F0: BF800000
	v_cndmask_b32_e64 v58, v35, v58, s[36:37]                  // 00000000A8F4: D100003A 00927523
	v_cmp_lt_u32_e64 s[36:37], v207, v36                       // 00000000A8FC: D0C90024 000249CF
	v_add_u32_e32 v207, 8, v207                                // 00000000A904: 699F9E88
	s_nop 0                                                    // 00000000A908: BF800000
	v_cndmask_b32_e64 v59, v35, v59, s[36:37]                  // 00000000A90C: D100003B 00927723
	s_nop 2                                                    // 00000000A914: BF800002
	v_mov_b32_e32 v213, v44                                    // 00000000A918: 7FAA032C
	v_max3_f32 v213, v44, v45, v213                            // 00000000A91C: D1D300D5 07565B2C
	v_max3_f32 v213, v46, v47, v213                            // 00000000A924: D1D300D5 07565F2E
	v_max3_f32 v213, v48, v49, v213                            // 00000000A92C: D1D300D5 07566330
	v_max3_f32 v213, v50, v51, v213                            // 00000000A934: D1D300D5 07566732
	v_max3_f32 v213, v52, v53, v213                            // 00000000A93C: D1D300D5 07566B34
	v_max3_f32 v213, v54, v55, v213                            // 00000000A944: D1D300D5 07566F36
	v_max3_f32 v213, v56, v57, v213                            // 00000000A94C: D1D300D5 07567338
	v_max3_f32 v213, v58, v59, v213                            // 00000000A954: D1D300D5 0756773A
	v_mov_b32_e32 v35, v213                                    // 00000000A95C: 7E4603D5
	v_mov_b32_e32 v36, v213                                    // 00000000A960: 7E4803D5
	s_nop 1                                                    // 00000000A964: BF800001
	v_permlane32_swap_b32_e32 v35, v36                         // 00000000A968: 7E46B524
	v_max3_f32 v213, v35, v36, v213                            // 00000000A96C: D1D300D5 07564923
	ds_write_b32 v41, v213                                     // 00000000A974: D81A0000 0000D529
	s_waitcnt lgkmcnt(0)                                       // 00000000A97C: BF8CC07F
	s_barrier                                                  // 00000000A980: BF8A0000
	ds_read_b32 v35, v40                                       // 00000000A984: D86C0000 23000028
	ds_read_b32 v36, v40 offset:256                            // 00000000A98C: D86C0100 24000028
	s_waitcnt lgkmcnt(0)                                       // 00000000A994: BF8CC07F
	v_max3_f32 v213, v35, v36, v213                            // 00000000A998: D1D300D5 07564923
	v_mov_b32_e32 v35, 0xff800000                              // 00000000A9A0: 7E4602FF FF800000
	v_cmp_eq_u32_e64 s[36:37], v35, v2                         // 00000000A9A8: D0CA0024 00020523
	v_max_f32_e32 v216, v213, v2                               // 00000000A9B0: 17B005D5
	v_sub_f32_e32 v21, v2, v216                                // 00000000A9B4: 042BB102
	v_cndmask_b32_e64 v21, v21, 0, s[36:37]                    // 00000000A9B8: D1000015 00910115
	v_mov_b32_e32 v2, v216                                     // 00000000A9C0: 7E0403D8
	v_mul_f32_e32 v212, s5, v216                               // 00000000A9C4: 0BA9B005
	v_mul_f32_e32 v21, s5, v21                                 // 00000000A9C8: 0A2A2A05
	v_exp_f32_e32 v21, v21                                     // 00000000A9CC: 7E2A4115
	v_fma_f32 v44, v44, s5, -v212                              // 00000000A9D0: D1CB002C 87500B2C
	v_fma_f32 v45, v45, s5, -v212                              // 00000000A9D8: D1CB002D 87500B2D
	v_fma_f32 v46, v46, s5, -v212                              // 00000000A9E0: D1CB002E 87500B2E
	v_fma_f32 v47, v47, s5, -v212                              // 00000000A9E8: D1CB002F 87500B2F
	v_fma_f32 v48, v48, s5, -v212                              // 00000000A9F0: D1CB0030 87500B30
	v_fma_f32 v49, v49, s5, -v212                              // 00000000A9F8: D1CB0031 87500B31
	v_fma_f32 v50, v50, s5, -v212                              // 00000000AA00: D1CB0032 87500B32
	v_fma_f32 v51, v51, s5, -v212                              // 00000000AA08: D1CB0033 87500B33
	v_fma_f32 v52, v52, s5, -v212                              // 00000000AA10: D1CB0034 87500B34
	v_fma_f32 v53, v53, s5, -v212                              // 00000000AA18: D1CB0035 87500B35
	v_fma_f32 v54, v54, s5, -v212                              // 00000000AA20: D1CB0036 87500B36
	v_fma_f32 v55, v55, s5, -v212                              // 00000000AA28: D1CB0037 87500B37
	v_fma_f32 v56, v56, s5, -v212                              // 00000000AA30: D1CB0038 87500B38
	v_fma_f32 v57, v57, s5, -v212                              // 00000000AA38: D1CB0039 87500B39
	v_fma_f32 v58, v58, s5, -v212                              // 00000000AA40: D1CB003A 87500B3A
	v_fma_f32 v59, v59, s5, -v212                              // 00000000AA48: D1CB003B 87500B3B
	v_mov_b32_e32 v35, 0xffc00000                              // 00000000AA50: 7E4602FF FFC00000
	v_exp_f32_e32 v44, v44                                     // 00000000AA58: 7E58412C
	v_exp_f32_e32 v45, v45                                     // 00000000AA5C: 7E5A412D
	v_exp_f32_e32 v46, v46                                     // 00000000AA60: 7E5C412E
	v_exp_f32_e32 v47, v47                                     // 00000000AA64: 7E5E412F
	v_exp_f32_e32 v48, v48                                     // 00000000AA68: 7E604130
	v_exp_f32_e32 v49, v49                                     // 00000000AA6C: 7E624131
	v_exp_f32_e32 v50, v50                                     // 00000000AA70: 7E644132
	v_exp_f32_e32 v51, v51                                     // 00000000AA74: 7E664133
	v_exp_f32_e32 v52, v52                                     // 00000000AA78: 7E684134
	v_exp_f32_e32 v53, v53                                     // 00000000AA7C: 7E6A4135
	v_exp_f32_e32 v54, v54                                     // 00000000AA80: 7E6C4136
	v_exp_f32_e32 v55, v55                                     // 00000000AA84: 7E6E4137
	v_exp_f32_e32 v56, v56                                     // 00000000AA88: 7E704138
	v_exp_f32_e32 v57, v57                                     // 00000000AA8C: 7E724139
	v_exp_f32_e32 v58, v58                                     // 00000000AA90: 7E74413A
	v_exp_f32_e32 v59, v59                                     // 00000000AA94: 7E76413B
	v_mul_f32_e32 v4, v21, v4                                  // 00000000AA98: 0A080915
	v_mov_b32_e32 v35, v44                                     // 00000000AA9C: 7E46032C
	v_add_f32_e32 v35, v45, v35                                // 00000000AAA0: 0246472D
	v_add_f32_e32 v35, v46, v35                                // 00000000AAA4: 0246472E
	v_add_f32_e32 v35, v47, v35                                // 00000000AAA8: 0246472F
	v_add_f32_e32 v35, v48, v35                                // 00000000AAAC: 02464730
	v_add_f32_e32 v35, v49, v35                                // 00000000AAB0: 02464731
	v_add_f32_e32 v35, v50, v35                                // 00000000AAB4: 02464732
	v_add_f32_e32 v35, v51, v35                                // 00000000AAB8: 02464733
	v_add_f32_e32 v35, v52, v35                                // 00000000AABC: 02464734
	v_add_f32_e32 v35, v53, v35                                // 00000000AAC0: 02464735
	v_add_f32_e32 v35, v54, v35                                // 00000000AAC4: 02464736
	v_add_f32_e32 v35, v55, v35                                // 00000000AAC8: 02464737
	v_add_f32_e32 v35, v56, v35                                // 00000000AACC: 02464738
	v_add_f32_e32 v35, v57, v35                                // 00000000AAD0: 02464739
	v_add_f32_e32 v35, v58, v35                                // 00000000AAD4: 0246473A
	v_add_f32_e32 v35, v59, v35                                // 00000000AAD8: 0246473B
	v_add_f32_e32 v4, v35, v4                                  // 00000000AADC: 02080923
	v_cvt_pk_fp8_f32 v44, v44, v45                             // 00000000AAE0: D2A2002C 00025B2C
	v_cvt_pk_fp8_f32 v44, v46, v47 op_sel:[0,0,1]              // 00000000AAE8: D2A2402C 00025F2E
	v_cvt_pk_fp8_f32 v45, v48, v49                             // 00000000AAF0: D2A2002D 00026330
	v_cvt_pk_fp8_f32 v45, v50, v51 op_sel:[0,0,1]              // 00000000AAF8: D2A2402D 00026732
	v_cvt_pk_fp8_f32 v46, v52, v53                             // 00000000AB00: D2A2002E 00026B34
	v_cvt_pk_fp8_f32 v46, v54, v55 op_sel:[0,0,1]              // 00000000AB08: D2A2402E 00026F36
	v_cvt_pk_fp8_f32 v47, v56, v57                             // 00000000AB10: D2A2002F 00027338
	v_cvt_pk_fp8_f32 v47, v58, v59 op_sel:[0,0,1]              // 00000000AB18: D2A2402F 0002773A
	ds_write_b128 v43, v[44:47] offset:1024                    // 00000000AB20: D9BE0400 00002C2B
	s_waitcnt lgkmcnt(0)                                       // 00000000AB28: BF8CC07F
	s_barrier                                                  // 00000000AB2C: BF8A0000
	ds_read_b128 v[44:47], v42 offset:1024                     // 00000000AB30: D9FE0400 2C00002A
	ds_read_b128 v[48:51], v42 offset:2048                     // 00000000AB38: D9FE0800 3000002A
	s_waitcnt lgkmcnt(0)                                       // 00000000AB40: BF8CC07F
	v_permlane32_swap_b32_e32 v44, v46                         // 00000000AB44: 7E58B52E
	v_permlane32_swap_b32_e32 v45, v47                         // 00000000AB48: 7E5AB52F
	v_swap_b32 v45, v46                                        // 00000000AB4C: 7E5AA32E
	v_permlane32_swap_b32_e32 v48, v50                         // 00000000AB50: 7E60B532
	v_permlane32_swap_b32_e32 v49, v51                         // 00000000AB54: 7E62B533
	v_swap_b32 v49, v50                                        // 00000000AB58: 7E62A332
	v_mov_b32_e32 v36, v21                                     // 00000000AB5C: 7E480315
	v_mov_b32_e32 v37, v21                                     // 00000000AB60: 7E4A0315
	v_pk_mul_f32 v[76:77], v[36:37], v[76:77]                  // 00000000AB64: D3B1404C 18029924
	v_pk_mul_f32 v[78:79], v[36:37], v[78:79]                  // 00000000AB6C: D3B1404E 18029D24
	v_pk_mul_f32 v[80:81], v[36:37], v[80:81]                  // 00000000AB74: D3B14050 1802A124
	v_pk_mul_f32 v[82:83], v[36:37], v[82:83]                  // 00000000AB7C: D3B14052 1802A524
	v_pk_mul_f32 v[84:85], v[36:37], v[84:85]                  // 00000000AB84: D3B14054 1802A924
	v_pk_mul_f32 v[86:87], v[36:37], v[86:87]                  // 00000000AB8C: D3B14056 1802AD24
	v_pk_mul_f32 v[88:89], v[36:37], v[88:89]                  // 00000000AB94: D3B14058 1802B124
	v_pk_mul_f32 v[90:91], v[36:37], v[90:91]                  // 00000000AB9C: D3B1405A 1802B524
	v_pk_mul_f32 v[92:93], v[36:37], v[92:93]                  // 00000000ABA4: D3B1405C 1802B924
	v_pk_mul_f32 v[94:95], v[36:37], v[94:95]                  // 00000000ABAC: D3B1405E 1802BD24
	v_pk_mul_f32 v[96:97], v[36:37], v[96:97]                  // 00000000ABB4: D3B14060 1802C124
	v_pk_mul_f32 v[98:99], v[36:37], v[98:99]                  // 00000000ABBC: D3B14062 1802C524
	v_pk_mul_f32 v[100:101], v[36:37], v[100:101]              // 00000000ABC4: D3B14064 1802C924
	v_pk_mul_f32 v[102:103], v[36:37], v[102:103]              // 00000000ABCC: D3B14066 1802CD24
	v_pk_mul_f32 v[104:105], v[36:37], v[104:105]              // 00000000ABD4: D3B14068 1802D124
	v_pk_mul_f32 v[106:107], v[36:37], v[106:107]              // 00000000ABDC: D3B1406A 1802D524
	v_pk_mul_f32 v[108:109], v[36:37], v[108:109]              // 00000000ABE4: D3B1406C 1802D924
	v_pk_mul_f32 v[110:111], v[36:37], v[110:111]              // 00000000ABEC: D3B1406E 1802DD24
	v_pk_mul_f32 v[112:113], v[36:37], v[112:113]              // 00000000ABF4: D3B14070 1802E124
	v_pk_mul_f32 v[114:115], v[36:37], v[114:115]              // 00000000ABFC: D3B14072 1802E524
	v_pk_mul_f32 v[116:117], v[36:37], v[116:117]              // 00000000AC04: D3B14074 1802E924
	v_pk_mul_f32 v[118:119], v[36:37], v[118:119]              // 00000000AC0C: D3B14076 1802ED24
	v_pk_mul_f32 v[120:121], v[36:37], v[120:121]              // 00000000AC14: D3B14078 1802F124
	v_pk_mul_f32 v[122:123], v[36:37], v[122:123]              // 00000000AC1C: D3B1407A 1802F524
	v_pk_mul_f32 v[124:125], v[36:37], v[124:125]              // 00000000AC24: D3B1407C 1802F924
	v_pk_mul_f32 v[126:127], v[36:37], v[126:127]              // 00000000AC2C: D3B1407E 1802FD24
	v_pk_mul_f32 v[128:129], v[36:37], v[128:129]              // 00000000AC34: D3B14080 18030124
	v_pk_mul_f32 v[130:131], v[36:37], v[130:131]              // 00000000AC3C: D3B14082 18030524
	v_pk_mul_f32 v[132:133], v[36:37], v[132:133]              // 00000000AC44: D3B14084 18030924
	v_pk_mul_f32 v[134:135], v[36:37], v[134:135]              // 00000000AC4C: D3B14086 18030D24
	v_pk_mul_f32 v[136:137], v[36:37], v[136:137]              // 00000000AC54: D3B14088 18031124
	v_pk_mul_f32 v[138:139], v[36:37], v[138:139]              // 00000000AC5C: D3B1408A 18031524
	v_pk_mul_f32 v[140:141], v[36:37], v[140:141]              // 00000000AC64: D3B1408C 18031924
	v_pk_mul_f32 v[142:143], v[36:37], v[142:143]              // 00000000AC6C: D3B1408E 18031D24
	v_pk_mul_f32 v[144:145], v[36:37], v[144:145]              // 00000000AC74: D3B14090 18032124
	v_pk_mul_f32 v[146:147], v[36:37], v[146:147]              // 00000000AC7C: D3B14092 18032524
	v_pk_mul_f32 v[148:149], v[36:37], v[148:149]              // 00000000AC84: D3B14094 18032924
	v_pk_mul_f32 v[150:151], v[36:37], v[150:151]              // 00000000AC8C: D3B14096 18032D24
	v_pk_mul_f32 v[152:153], v[36:37], v[152:153]              // 00000000AC94: D3B14098 18033124
	v_pk_mul_f32 v[154:155], v[36:37], v[154:155]              // 00000000AC9C: D3B1409A 18033524
	v_pk_mul_f32 v[156:157], v[36:37], v[156:157]              // 00000000ACA4: D3B1409C 18033924
	v_pk_mul_f32 v[158:159], v[36:37], v[158:159]              // 00000000ACAC: D3B1409E 18033D24
	v_pk_mul_f32 v[160:161], v[36:37], v[160:161]              // 00000000ACB4: D3B140A0 18034124
	v_pk_mul_f32 v[162:163], v[36:37], v[162:163]              // 00000000ACBC: D3B140A2 18034524
	v_pk_mul_f32 v[164:165], v[36:37], v[164:165]              // 00000000ACC4: D3B140A4 18034924
	v_pk_mul_f32 v[166:167], v[36:37], v[166:167]              // 00000000ACCC: D3B140A6 18034D24
	v_pk_mul_f32 v[168:169], v[36:37], v[168:169]              // 00000000ACD4: D3B140A8 18035124
	v_pk_mul_f32 v[170:171], v[36:37], v[170:171]              // 00000000ACDC: D3B140AA 18035524
	v_pk_mul_f32 v[172:173], v[36:37], v[172:173]              // 00000000ACE4: D3B140AC 18035924
	v_pk_mul_f32 v[174:175], v[36:37], v[174:175]              // 00000000ACEC: D3B140AE 18035D24
	v_pk_mul_f32 v[176:177], v[36:37], v[176:177]              // 00000000ACF4: D3B140B0 18036124
	v_pk_mul_f32 v[178:179], v[36:37], v[178:179]              // 00000000ACFC: D3B140B2 18036524
	v_pk_mul_f32 v[180:181], v[36:37], v[180:181]              // 00000000AD04: D3B140B4 18036924
	v_pk_mul_f32 v[182:183], v[36:37], v[182:183]              // 00000000AD0C: D3B140B6 18036D24
	v_pk_mul_f32 v[184:185], v[36:37], v[184:185]              // 00000000AD14: D3B140B8 18037124
	v_pk_mul_f32 v[186:187], v[36:37], v[186:187]              // 00000000AD1C: D3B140BA 18037524
	v_pk_mul_f32 v[188:189], v[36:37], v[188:189]              // 00000000AD24: D3B140BC 18037924
	v_pk_mul_f32 v[190:191], v[36:37], v[190:191]              // 00000000AD2C: D3B140BE 18037D24
	v_pk_mul_f32 v[192:193], v[36:37], v[192:193]              // 00000000AD34: D3B140C0 18038124
	v_pk_mul_f32 v[194:195], v[36:37], v[194:195]              // 00000000AD3C: D3B140C2 18038524
	v_pk_mul_f32 v[196:197], v[36:37], v[196:197]              // 00000000AD44: D3B140C4 18038924
	v_pk_mul_f32 v[198:199], v[36:37], v[198:199]              // 00000000AD4C: D3B140C6 18038D24
	v_pk_mul_f32 v[200:201], v[36:37], v[200:201]              // 00000000AD54: D3B140C8 18039124
	v_pk_mul_f32 v[202:203], v[36:37], v[202:203]              // 00000000AD5C: D3B140CA 18039524
	v_mfma_f32_32x32x64_f8f6f4 v[76:91], a[72:79], v[44:51], v[76:91]// 00000000AD64: D3AE004C 0D325948
	v_mfma_f32_32x32x64_f8f6f4 v[92:107], a[80:87], v[44:51], v[92:107]// 00000000AD6C: D3AE005C 0D725950
	v_mfma_f32_32x32x64_f8f6f4 v[108:123], a[88:95], v[44:51], v[108:123]// 00000000AD74: D3AE006C 0DB25958
	v_mfma_f32_32x32x64_f8f6f4 v[124:139], a[96:103], v[44:51], v[124:139]// 00000000AD7C: D3AE007C 0DF25960
	v_mfma_f32_32x32x64_f8f6f4 v[140:155], a[104:111], v[44:51], v[140:155]// 00000000AD84: D3AE008C 0E325968
	v_mfma_f32_32x32x64_f8f6f4 v[156:171], a[112:119], v[44:51], v[156:171]// 00000000AD8C: D3AE009C 0E725970
	v_mfma_f32_32x32x64_f8f6f4 v[172:187], a[120:127], v[44:51], v[172:187]// 00000000AD94: D3AE00AC 0EB25978
	v_mfma_f32_32x32x64_f8f6f4 v[188:203], a[128:135], v[44:51], v[188:203]// 00000000AD9C: D3AE00BC 0EF25980
	s_nop 8                                                    // 00000000ADA4: BF800008
	s_branch label_8AAC                                        // 00000000ADA8: BF820000

000000000000adac <label_8AAC>:
	ds_write_b32 v41, v4                                       // 00000000ADAC: D81A0000 00000429
	s_waitcnt lgkmcnt(0)                                       // 00000000ADB4: BF8CC07F
	s_barrier                                                  // 00000000ADB8: BF8A0000
	ds_read_b32 v35, v40                                       // 00000000ADBC: D86C0000 23000028
	ds_read_b32 v37, v40 offset:256                            // 00000000ADC4: D86C0100 25000028
	s_waitcnt lgkmcnt(0)                                       // 00000000ADCC: BF8CC07F
	v_mov_b32_e32 v36, v35                                     // 00000000ADD0: 7E480323
	v_mov_b32_e32 v38, v37                                     // 00000000ADD4: 7E4C0325
	s_nop 0                                                    // 00000000ADD8: BF800000
	v_permlane32_swap_b32_e32 v35, v36                         // 00000000ADDC: 7E46B524
	v_permlane32_swap_b32_e32 v37, v38                         // 00000000ADE0: 7E4AB526
	v_mov_b32_e32 v4, 0                                        // 00000000ADE4: 7E080280
	v_add_f32_e32 v4, v35, v4                                  // 00000000ADE8: 02080923
	v_add_f32_e32 v4, v36, v4                                  // 00000000ADEC: 02080924
	v_add_f32_e32 v4, v37, v4                                  // 00000000ADF0: 02080925
	v_add_f32_e32 v4, v38, v4                                  // 00000000ADF4: 02080926
	v_mov_b32_e32 v35, 0                                       // 00000000ADF8: 7E460280
	v_cmp_eq_u32_e64 s[36:37], v35, v4                         // 00000000ADFC: D0CA0024 00020923
	v_mul_f32_e64 v35, v2, s64                                 // 00000000AE04: D1050023 00008102
	v_log_f32_e32 v36, v4                                      // 00000000AE0C: 7E484304
	s_nop 1                                                    // 00000000AE10: BF800001
	v_rcp_f32_e32 v4, v4                                       // 00000000AE14: 7E084504
	s_nop 1                                                    // 00000000AE18: BF800001
	v_fma_f32 v218, v36, s63, v35                              // 00000000AE1C: D1CB00DA 048C7F24
	v_mul_f32_e32 v4, s61, v4                                  // 00000000AE24: 0A08083D
	v_mov_b32_e32 v44, v4                                      // 00000000AE28: 7E580304
	v_mov_b32_e32 v45, v4                                      // 00000000AE2C: 7E5A0304
	v_pk_mul_f32 v[76:77], v[44:45], v[76:77]                  // 00000000AE30: D3B1404C 1802992C
	v_pk_mul_f32 v[78:79], v[44:45], v[78:79]                  // 00000000AE38: D3B1404E 18029D2C
	v_pk_mul_f32 v[80:81], v[44:45], v[80:81]                  // 00000000AE40: D3B14050 1802A12C
	v_pk_mul_f32 v[82:83], v[44:45], v[82:83]                  // 00000000AE48: D3B14052 1802A52C
	v_pk_mul_f32 v[84:85], v[44:45], v[84:85]                  // 00000000AE50: D3B14054 1802A92C
	v_pk_mul_f32 v[86:87], v[44:45], v[86:87]                  // 00000000AE58: D3B14056 1802AD2C
	v_pk_mul_f32 v[88:89], v[44:45], v[88:89]                  // 00000000AE60: D3B14058 1802B12C
	v_pk_mul_f32 v[90:91], v[44:45], v[90:91]                  // 00000000AE68: D3B1405A 1802B52C
	v_pk_mul_f32 v[92:93], v[44:45], v[92:93]                  // 00000000AE70: D3B1405C 1802B92C
	v_pk_mul_f32 v[94:95], v[44:45], v[94:95]                  // 00000000AE78: D3B1405E 1802BD2C
	v_pk_mul_f32 v[96:97], v[44:45], v[96:97]                  // 00000000AE80: D3B14060 1802C12C
	v_pk_mul_f32 v[98:99], v[44:45], v[98:99]                  // 00000000AE88: D3B14062 1802C52C
	v_pk_mul_f32 v[100:101], v[44:45], v[100:101]              // 00000000AE90: D3B14064 1802C92C
	v_pk_mul_f32 v[102:103], v[44:45], v[102:103]              // 00000000AE98: D3B14066 1802CD2C
	v_pk_mul_f32 v[104:105], v[44:45], v[104:105]              // 00000000AEA0: D3B14068 1802D12C
	v_pk_mul_f32 v[106:107], v[44:45], v[106:107]              // 00000000AEA8: D3B1406A 1802D52C
	v_pk_mul_f32 v[108:109], v[44:45], v[108:109]              // 00000000AEB0: D3B1406C 1802D92C
	v_pk_mul_f32 v[110:111], v[44:45], v[110:111]              // 00000000AEB8: D3B1406E 1802DD2C
	v_pk_mul_f32 v[112:113], v[44:45], v[112:113]              // 00000000AEC0: D3B14070 1802E12C
	v_pk_mul_f32 v[114:115], v[44:45], v[114:115]              // 00000000AEC8: D3B14072 1802E52C
	v_pk_mul_f32 v[116:117], v[44:45], v[116:117]              // 00000000AED0: D3B14074 1802E92C
	v_pk_mul_f32 v[118:119], v[44:45], v[118:119]              // 00000000AED8: D3B14076 1802ED2C
	v_pk_mul_f32 v[120:121], v[44:45], v[120:121]              // 00000000AEE0: D3B14078 1802F12C
	v_pk_mul_f32 v[122:123], v[44:45], v[122:123]              // 00000000AEE8: D3B1407A 1802F52C
	v_pk_mul_f32 v[124:125], v[44:45], v[124:125]              // 00000000AEF0: D3B1407C 1802F92C
	v_pk_mul_f32 v[126:127], v[44:45], v[126:127]              // 00000000AEF8: D3B1407E 1802FD2C
	v_pk_mul_f32 v[128:129], v[44:45], v[128:129]              // 00000000AF00: D3B14080 1803012C
	v_pk_mul_f32 v[130:131], v[44:45], v[130:131]              // 00000000AF08: D3B14082 1803052C
	v_pk_mul_f32 v[132:133], v[44:45], v[132:133]              // 00000000AF10: D3B14084 1803092C
	v_pk_mul_f32 v[134:135], v[44:45], v[134:135]              // 00000000AF18: D3B14086 18030D2C
	v_pk_mul_f32 v[136:137], v[44:45], v[136:137]              // 00000000AF20: D3B14088 1803112C
	v_pk_mul_f32 v[138:139], v[44:45], v[138:139]              // 00000000AF28: D3B1408A 1803152C
	v_pk_mul_f32 v[140:141], v[44:45], v[140:141]              // 00000000AF30: D3B1408C 1803192C
	v_pk_mul_f32 v[142:143], v[44:45], v[142:143]              // 00000000AF38: D3B1408E 18031D2C
	v_pk_mul_f32 v[144:145], v[44:45], v[144:145]              // 00000000AF40: D3B14090 1803212C
	v_pk_mul_f32 v[146:147], v[44:45], v[146:147]              // 00000000AF48: D3B14092 1803252C
	v_pk_mul_f32 v[148:149], v[44:45], v[148:149]              // 00000000AF50: D3B14094 1803292C
	v_pk_mul_f32 v[150:151], v[44:45], v[150:151]              // 00000000AF58: D3B14096 18032D2C
	v_pk_mul_f32 v[152:153], v[44:45], v[152:153]              // 00000000AF60: D3B14098 1803312C
	v_pk_mul_f32 v[154:155], v[44:45], v[154:155]              // 00000000AF68: D3B1409A 1803352C
	v_pk_mul_f32 v[156:157], v[44:45], v[156:157]              // 00000000AF70: D3B1409C 1803392C
	v_pk_mul_f32 v[158:159], v[44:45], v[158:159]              // 00000000AF78: D3B1409E 18033D2C
	v_pk_mul_f32 v[160:161], v[44:45], v[160:161]              // 00000000AF80: D3B140A0 1803412C
	v_pk_mul_f32 v[162:163], v[44:45], v[162:163]              // 00000000AF88: D3B140A2 1803452C
	v_pk_mul_f32 v[164:165], v[44:45], v[164:165]              // 00000000AF90: D3B140A4 1803492C
	v_pk_mul_f32 v[166:167], v[44:45], v[166:167]              // 00000000AF98: D3B140A6 18034D2C
	v_pk_mul_f32 v[168:169], v[44:45], v[168:169]              // 00000000AFA0: D3B140A8 1803512C
	v_pk_mul_f32 v[170:171], v[44:45], v[170:171]              // 00000000AFA8: D3B140AA 1803552C
	v_pk_mul_f32 v[172:173], v[44:45], v[172:173]              // 00000000AFB0: D3B140AC 1803592C
	v_pk_mul_f32 v[174:175], v[44:45], v[174:175]              // 00000000AFB8: D3B140AE 18035D2C
	v_pk_mul_f32 v[176:177], v[44:45], v[176:177]              // 00000000AFC0: D3B140B0 1803612C
	v_pk_mul_f32 v[178:179], v[44:45], v[178:179]              // 00000000AFC8: D3B140B2 1803652C
	v_pk_mul_f32 v[180:181], v[44:45], v[180:181]              // 00000000AFD0: D3B140B4 1803692C
	v_pk_mul_f32 v[182:183], v[44:45], v[182:183]              // 00000000AFD8: D3B140B6 18036D2C
	v_pk_mul_f32 v[184:185], v[44:45], v[184:185]              // 00000000AFE0: D3B140B8 1803712C
	v_pk_mul_f32 v[186:187], v[44:45], v[186:187]              // 00000000AFE8: D3B140BA 1803752C
	v_pk_mul_f32 v[188:189], v[44:45], v[188:189]              // 00000000AFF0: D3B140BC 1803792C
	v_pk_mul_f32 v[190:191], v[44:45], v[190:191]              // 00000000AFF8: D3B140BE 18037D2C
	v_pk_mul_f32 v[192:193], v[44:45], v[192:193]              // 00000000B000: D3B140C0 1803812C
	v_pk_mul_f32 v[194:195], v[44:45], v[194:195]              // 00000000B008: D3B140C2 1803852C
	v_pk_mul_f32 v[196:197], v[44:45], v[196:197]              // 00000000B010: D3B140C4 1803892C
	v_pk_mul_f32 v[198:199], v[44:45], v[198:199]              // 00000000B018: D3B140C6 18038D2C
	v_pk_mul_f32 v[200:201], v[44:45], v[200:201]              // 00000000B020: D3B140C8 1803912C
	v_pk_mul_f32 v[202:203], v[44:45], v[202:203]              // 00000000B028: D3B140CA 1803952C
	s_cmp_lt_i32 s87, 0                                        // 00000000B030: BF048057
	s_cbranch_scc1 label_952C                                  // 00000000B034: BF8501FD
	s_mul_i32 s75, 0x800, s65                                  // 00000000B038: 924B41FF 00000800
	s_mul_i32 s56, s87, s75                                    // 00000000B040: 92384B57
	s_add_u32 s8, s56, s8                                      // 00000000B044: 80080838
	s_addc_u32 s9, 0, s9                                       // 00000000B048: 82090980
	s_mul_i32 s56, s75, s81                                    // 00000000B04C: 9238514B
	s_mov_b32 s10, s56                                         // 00000000B050: BE8A0038
	s_mov_b32 s57, 0x10000                                     // 00000000B054: BEB900FF 00010000
	s_lshr_b32 s56, s7, 1                                      // 00000000B05C: 8F388107
	s_mul_i32 s56, s56, s57                                    // 00000000B060: 92383938
	s_mov_b32 s58, 0x400                                       // 00000000B064: BEBA00FF 00000400
	s_and_b32 s57, 1, s7                                       // 00000000B06C: 86390781
	s_mul_i32 s57, s57, s58                                    // 00000000B070: 92393A39
	s_add_u32 s56, s56, s57                                    // 00000000B074: 80383938
	v_lshrrev_b32_e32 v219, 2, v0                              // 00000000B078: 21B60082
	s_mov_b32 s57, 0x800                                       // 00000000B07C: BEB900FF 00000800
	v_mul_i32_i24_e32 v219, s57, v219                          // 00000000B084: 0DB7B639
	v_and_b32_e32 v35, 3, v0                                   // 00000000B088: 26460083
	v_lshlrev_b32_e32 v35, 4, v35                              // 00000000B08C: 24464684
	v_add_u32_e32 v219, v35, v219                              // 00000000B090: 69B7B723
	v_add_u32_e32 v219, s56, v219                              // 00000000B094: 69B7B638
	s_mov_b32 s57, 0x8000                                      // 00000000B098: BEB900FF 00008000
	v_add_u32_e32 v220, s57, v219                              // 00000000B0A0: 69B9B639
	s_mul_i32 s57, 4, s65                                      // 00000000B0A4: 92394184
	s_mul_i32 s56, s87, s57                                    // 00000000B0A8: 92383957
	s_add_u32 s12, s56, s12                                    // 00000000B0AC: 800C0C38
	s_addc_u32 s13, 0, s13                                     // 00000000B0B0: 820D0D80
	s_mul_i32 s58, s57, s81                                    // 00000000B0B4: 923A5139
	s_mov_b32 s14, s58                                         // 00000000B0B8: BE8E003A
	v_and_b32_e32 v221, 31, v0                                 // 00000000B0BC: 27BA009F
	v_lshlrev_b32_e32 v221, 2, v221                            // 00000000B0C0: 25BBBA82
	s_mul_i32 s58, 4, 32                                       // 00000000B0C4: 923AA084
	s_lshr_b32 s56, s7, 1                                      // 00000000B0C8: 8F388107
	s_mul_i32 s56, s56, s58                                    // 00000000B0CC: 92383A38
	v_add_u32_e64 v221, v221, s56                              // 00000000B0D0: D13400DD 000071DD
	v_and_b32_e32 v35, 1, v0                                   // 00000000B0D8: 26460081
	v_lshlrev_b32_e32 v35, 5, v35                              // 00000000B0DC: 24464685
	v_and_b32_e32 v36, 3, v0                                   // 00000000B0E0: 26480083
	v_lshrrev_b32_e32 v36, 1, v36                              // 00000000B0E4: 20484881
	v_lshlrev_b32_e32 v36, 4, v36                              // 00000000B0E8: 24484884
	v_add_u32_e32 v35, v35, v36                                // 00000000B0EC: 68464923
	v_lshrrev_b32_e32 v36, 2, v0                               // 00000000B0F0: 20480082
	v_add_u32_e32 v35, v35, v36                                // 00000000B0F4: 68464923
	v_lshlrev_b32_e32 v35, 2, v35                              // 00000000B0F8: 24464682
	v_lshlrev_b32_e32 v37, 4, v0                               // 00000000B0FC: 244A0084
	v_permlane16_swap_b32_e32 v76, v80                         // 00000000B100: 7E98B350
	v_permlane16_swap_b32_e32 v77, v81                         // 00000000B104: 7E9AB351
	v_permlane16_swap_b32_e32 v78, v82                         // 00000000B108: 7E9CB352
	v_permlane16_swap_b32_e32 v79, v83                         // 00000000B10C: 7E9EB353
	ds_bpermute_b32 v44, v35, v76                              // 00000000B110: D87E0000 2C004C23
	ds_bpermute_b32 v45, v35, v77                              // 00000000B118: D87E0000 2D004D23
	ds_bpermute_b32 v46, v35, v78                              // 00000000B120: D87E0000 2E004E23
	ds_bpermute_b32 v47, v35, v79                              // 00000000B128: D87E0000 2F004F23
	ds_bpermute_b32 v48, v35, v80                              // 00000000B130: D87E0000 30005023
	ds_bpermute_b32 v49, v35, v81                              // 00000000B138: D87E0000 31005123
	ds_bpermute_b32 v50, v35, v82                              // 00000000B140: D87E0000 32005223
	ds_bpermute_b32 v51, v35, v83                              // 00000000B148: D87E0000 33005323
	v_permlane16_swap_b32_e32 v84, v88                         // 00000000B150: 7EA8B358
	v_permlane16_swap_b32_e32 v85, v89                         // 00000000B154: 7EAAB359
	v_permlane16_swap_b32_e32 v86, v90                         // 00000000B158: 7EACB35A
	v_permlane16_swap_b32_e32 v87, v91                         // 00000000B15C: 7EAEB35B
	ds_bpermute_b32 v52, v35, v84                              // 00000000B160: D87E0000 34005423
	ds_bpermute_b32 v53, v35, v85                              // 00000000B168: D87E0000 35005523
	ds_bpermute_b32 v54, v35, v86                              // 00000000B170: D87E0000 36005623
	ds_bpermute_b32 v55, v35, v87                              // 00000000B178: D87E0000 37005723
	ds_bpermute_b32 v56, v35, v88                              // 00000000B180: D87E0000 38005823
	ds_bpermute_b32 v57, v35, v89                              // 00000000B188: D87E0000 39005923
	ds_bpermute_b32 v58, v35, v90                              // 00000000B190: D87E0000 3A005A23
	ds_bpermute_b32 v59, v35, v91                              // 00000000B198: D87E0000 3B005B23
	s_waitcnt lgkmcnt(12)                                      // 00000000B1A0: BF8CCC7F
	buffer_store_dwordx4 v[44:47], v219, s[8:11], 0 offen      // 00000000B1A4: E07C1000 80022CDB
	s_waitcnt lgkmcnt(8)                                       // 00000000B1AC: BF8CC87F
	buffer_store_dwordx4 v[48:51], v220, s[8:11], 0 offen      // 00000000B1B0: E07C1000 800230DC
	s_mov_b32 s56, 64                                          // 00000000B1B8: BEB800C0
	v_add_u32_e32 v219, s56, v219                              // 00000000B1BC: 69B7B638
	v_add_u32_e32 v220, s56, v220                              // 00000000B1C0: 69B9B838
	s_waitcnt lgkmcnt(4)                                       // 00000000B1C4: BF8CC47F
	buffer_store_dwordx4 v[52:55], v219, s[8:11], 0 offen      // 00000000B1C8: E07C1000 800234DB
	s_waitcnt lgkmcnt(0)                                       // 00000000B1D0: BF8CC07F
	buffer_store_dwordx4 v[56:59], v220, s[8:11], 0 offen      // 00000000B1D4: E07C1000 800238DC
	v_add_u32_e32 v219, s56, v219                              // 00000000B1DC: 69B7B638
	v_add_u32_e32 v220, s56, v220                              // 00000000B1E0: 69B9B838
	v_permlane16_swap_b32_e32 v92, v96                         // 00000000B1E4: 7EB8B360
	v_permlane16_swap_b32_e32 v93, v97                         // 00000000B1E8: 7EBAB361
	v_permlane16_swap_b32_e32 v94, v98                         // 00000000B1EC: 7EBCB362
	v_permlane16_swap_b32_e32 v95, v99                         // 00000000B1F0: 7EBEB363
	ds_bpermute_b32 v44, v35, v92                              // 00000000B1F4: D87E0000 2C005C23
	ds_bpermute_b32 v45, v35, v93                              // 00000000B1FC: D87E0000 2D005D23
	ds_bpermute_b32 v46, v35, v94                              // 00000000B204: D87E0000 2E005E23
	ds_bpermute_b32 v47, v35, v95                              // 00000000B20C: D87E0000 2F005F23
	ds_bpermute_b32 v48, v35, v96                              // 00000000B214: D87E0000 30006023
	ds_bpermute_b32 v49, v35, v97                              // 00000000B21C: D87E0000 31006123
	ds_bpermute_b32 v50, v35, v98                              // 00000000B224: D87E0000 32006223
	ds_bpermute_b32 v51, v35, v99                              // 00000000B22C: D87E0000 33006323
	v_permlane16_swap_b32_e32 v100, v104                       // 00000000B234: 7EC8B368
	v_permlane16_swap_b32_e32 v101, v105                       // 00000000B238: 7ECAB369
	v_permlane16_swap_b32_e32 v102, v106                       // 00000000B23C: 7ECCB36A
	v_permlane16_swap_b32_e32 v103, v107                       // 00000000B240: 7ECEB36B
	ds_bpermute_b32 v52, v35, v100                             // 00000000B244: D87E0000 34006423
	ds_bpermute_b32 v53, v35, v101                             // 00000000B24C: D87E0000 35006523
	ds_bpermute_b32 v54, v35, v102                             // 00000000B254: D87E0000 36006623
	ds_bpermute_b32 v55, v35, v103                             // 00000000B25C: D87E0000 37006723
	ds_bpermute_b32 v56, v35, v104                             // 00000000B264: D87E0000 38006823
	ds_bpermute_b32 v57, v35, v105                             // 00000000B26C: D87E0000 39006923
	ds_bpermute_b32 v58, v35, v106                             // 00000000B274: D87E0000 3A006A23
	ds_bpermute_b32 v59, v35, v107                             // 00000000B27C: D87E0000 3B006B23
	s_waitcnt lgkmcnt(12)                                      // 00000000B284: BF8CCC7F
	buffer_store_dwordx4 v[44:47], v219, s[8:11], 0 offen      // 00000000B288: E07C1000 80022CDB
	s_waitcnt lgkmcnt(8)                                       // 00000000B290: BF8CC87F
	buffer_store_dwordx4 v[48:51], v220, s[8:11], 0 offen      // 00000000B294: E07C1000 800230DC
	s_mov_b32 s56, 64                                          // 00000000B29C: BEB800C0
	v_add_u32_e32 v219, s56, v219                              // 00000000B2A0: 69B7B638
	v_add_u32_e32 v220, s56, v220                              // 00000000B2A4: 69B9B838
	s_waitcnt lgkmcnt(4)                                       // 00000000B2A8: BF8CC47F
	buffer_store_dwordx4 v[52:55], v219, s[8:11], 0 offen      // 00000000B2AC: E07C1000 800234DB
	s_waitcnt lgkmcnt(0)                                       // 00000000B2B4: BF8CC07F
	buffer_store_dwordx4 v[56:59], v220, s[8:11], 0 offen      // 00000000B2B8: E07C1000 800238DC
	v_add_u32_e32 v219, s56, v219                              // 00000000B2C0: 69B7B638
	v_add_u32_e32 v220, s56, v220                              // 00000000B2C4: 69B9B838
	v_permlane16_swap_b32_e32 v108, v112                       // 00000000B2C8: 7ED8B370
	v_permlane16_swap_b32_e32 v109, v113                       // 00000000B2CC: 7EDAB371
	v_permlane16_swap_b32_e32 v110, v114                       // 00000000B2D0: 7EDCB372
	v_permlane16_swap_b32_e32 v111, v115                       // 00000000B2D4: 7EDEB373
	ds_bpermute_b32 v44, v35, v108                             // 00000000B2D8: D87E0000 2C006C23
	ds_bpermute_b32 v45, v35, v109                             // 00000000B2E0: D87E0000 2D006D23
	ds_bpermute_b32 v46, v35, v110                             // 00000000B2E8: D87E0000 2E006E23
	ds_bpermute_b32 v47, v35, v111                             // 00000000B2F0: D87E0000 2F006F23
	ds_bpermute_b32 v48, v35, v112                             // 00000000B2F8: D87E0000 30007023
	ds_bpermute_b32 v49, v35, v113                             // 00000000B300: D87E0000 31007123
	ds_bpermute_b32 v50, v35, v114                             // 00000000B308: D87E0000 32007223
	ds_bpermute_b32 v51, v35, v115                             // 00000000B310: D87E0000 33007323
	v_permlane16_swap_b32_e32 v116, v120                       // 00000000B318: 7EE8B378
	v_permlane16_swap_b32_e32 v117, v121                       // 00000000B31C: 7EEAB379
	v_permlane16_swap_b32_e32 v118, v122                       // 00000000B320: 7EECB37A
	v_permlane16_swap_b32_e32 v119, v123                       // 00000000B324: 7EEEB37B
	ds_bpermute_b32 v52, v35, v116                             // 00000000B328: D87E0000 34007423
	ds_bpermute_b32 v53, v35, v117                             // 00000000B330: D87E0000 35007523
	ds_bpermute_b32 v54, v35, v118                             // 00000000B338: D87E0000 36007623
	ds_bpermute_b32 v55, v35, v119                             // 00000000B340: D87E0000 37007723
	ds_bpermute_b32 v56, v35, v120                             // 00000000B348: D87E0000 38007823
	ds_bpermute_b32 v57, v35, v121                             // 00000000B350: D87E0000 39007923
	ds_bpermute_b32 v58, v35, v122                             // 00000000B358: D87E0000 3A007A23
	ds_bpermute_b32 v59, v35, v123                             // 00000000B360: D87E0000 3B007B23
	s_waitcnt lgkmcnt(12)                                      // 00000000B368: BF8CCC7F
	buffer_store_dwordx4 v[44:47], v219, s[8:11], 0 offen      // 00000000B36C: E07C1000 80022CDB
	s_waitcnt lgkmcnt(8)                                       // 00000000B374: BF8CC87F
	buffer_store_dwordx4 v[48:51], v220, s[8:11], 0 offen      // 00000000B378: E07C1000 800230DC
	s_mov_b32 s56, 64                                          // 00000000B380: BEB800C0
	v_add_u32_e32 v219, s56, v219                              // 00000000B384: 69B7B638
	v_add_u32_e32 v220, s56, v220                              // 00000000B388: 69B9B838
	s_waitcnt lgkmcnt(4)                                       // 00000000B38C: BF8CC47F
	buffer_store_dwordx4 v[52:55], v219, s[8:11], 0 offen      // 00000000B390: E07C1000 800234DB
	s_waitcnt lgkmcnt(0)                                       // 00000000B398: BF8CC07F
	buffer_store_dwordx4 v[56:59], v220, s[8:11], 0 offen      // 00000000B39C: E07C1000 800238DC
	v_add_u32_e32 v219, s56, v219                              // 00000000B3A4: 69B7B638
	v_add_u32_e32 v220, s56, v220                              // 00000000B3A8: 69B9B838
	v_permlane16_swap_b32_e32 v124, v128                       // 00000000B3AC: 7EF8B380
	v_permlane16_swap_b32_e32 v125, v129                       // 00000000B3B0: 7EFAB381
	v_permlane16_swap_b32_e32 v126, v130                       // 00000000B3B4: 7EFCB382
	v_permlane16_swap_b32_e32 v127, v131                       // 00000000B3B8: 7EFEB383
	ds_bpermute_b32 v44, v35, v124                             // 00000000B3BC: D87E0000 2C007C23
	ds_bpermute_b32 v45, v35, v125                             // 00000000B3C4: D87E0000 2D007D23
	ds_bpermute_b32 v46, v35, v126                             // 00000000B3CC: D87E0000 2E007E23
	ds_bpermute_b32 v47, v35, v127                             // 00000000B3D4: D87E0000 2F007F23
	ds_bpermute_b32 v48, v35, v128                             // 00000000B3DC: D87E0000 30008023
	ds_bpermute_b32 v49, v35, v129                             // 00000000B3E4: D87E0000 31008123
	ds_bpermute_b32 v50, v35, v130                             // 00000000B3EC: D87E0000 32008223
	ds_bpermute_b32 v51, v35, v131                             // 00000000B3F4: D87E0000 33008323
	v_permlane16_swap_b32_e32 v132, v136                       // 00000000B3FC: 7F08B388
	v_permlane16_swap_b32_e32 v133, v137                       // 00000000B400: 7F0AB389
	v_permlane16_swap_b32_e32 v134, v138                       // 00000000B404: 7F0CB38A
	v_permlane16_swap_b32_e32 v135, v139                       // 00000000B408: 7F0EB38B
	ds_bpermute_b32 v52, v35, v132                             // 00000000B40C: D87E0000 34008423
	ds_bpermute_b32 v53, v35, v133                             // 00000000B414: D87E0000 35008523
	ds_bpermute_b32 v54, v35, v134                             // 00000000B41C: D87E0000 36008623
	ds_bpermute_b32 v55, v35, v135                             // 00000000B424: D87E0000 37008723
	ds_bpermute_b32 v56, v35, v136                             // 00000000B42C: D87E0000 38008823
	ds_bpermute_b32 v57, v35, v137                             // 00000000B434: D87E0000 39008923
	ds_bpermute_b32 v58, v35, v138                             // 00000000B43C: D87E0000 3A008A23
	ds_bpermute_b32 v59, v35, v139                             // 00000000B444: D87E0000 3B008B23
	s_waitcnt lgkmcnt(12)                                      // 00000000B44C: BF8CCC7F
	buffer_store_dwordx4 v[44:47], v219, s[8:11], 0 offen      // 00000000B450: E07C1000 80022CDB
	s_waitcnt lgkmcnt(8)                                       // 00000000B458: BF8CC87F
	buffer_store_dwordx4 v[48:51], v220, s[8:11], 0 offen      // 00000000B45C: E07C1000 800230DC
	s_mov_b32 s56, 64                                          // 00000000B464: BEB800C0
	v_add_u32_e32 v219, s56, v219                              // 00000000B468: 69B7B638
	v_add_u32_e32 v220, s56, v220                              // 00000000B46C: 69B9B838
	s_waitcnt lgkmcnt(4)                                       // 00000000B470: BF8CC47F
	buffer_store_dwordx4 v[52:55], v219, s[8:11], 0 offen      // 00000000B474: E07C1000 800234DB
	s_waitcnt lgkmcnt(0)                                       // 00000000B47C: BF8CC07F
	buffer_store_dwordx4 v[56:59], v220, s[8:11], 0 offen      // 00000000B480: E07C1000 800238DC
	v_add_u32_e32 v219, s56, v219                              // 00000000B488: 69B7B638
	v_add_u32_e32 v220, s56, v220                              // 00000000B48C: 69B9B838
	v_permlane16_swap_b32_e32 v140, v144                       // 00000000B490: 7F18B390
	v_permlane16_swap_b32_e32 v141, v145                       // 00000000B494: 7F1AB391
	v_permlane16_swap_b32_e32 v142, v146                       // 00000000B498: 7F1CB392
	v_permlane16_swap_b32_e32 v143, v147                       // 00000000B49C: 7F1EB393
	ds_bpermute_b32 v44, v35, v140                             // 00000000B4A0: D87E0000 2C008C23
	ds_bpermute_b32 v45, v35, v141                             // 00000000B4A8: D87E0000 2D008D23
	ds_bpermute_b32 v46, v35, v142                             // 00000000B4B0: D87E0000 2E008E23
	ds_bpermute_b32 v47, v35, v143                             // 00000000B4B8: D87E0000 2F008F23
	ds_bpermute_b32 v48, v35, v144                             // 00000000B4C0: D87E0000 30009023
	ds_bpermute_b32 v49, v35, v145                             // 00000000B4C8: D87E0000 31009123
	ds_bpermute_b32 v50, v35, v146                             // 00000000B4D0: D87E0000 32009223
	ds_bpermute_b32 v51, v35, v147                             // 00000000B4D8: D87E0000 33009323
	v_permlane16_swap_b32_e32 v148, v152                       // 00000000B4E0: 7F28B398
	v_permlane16_swap_b32_e32 v149, v153                       // 00000000B4E4: 7F2AB399
	v_permlane16_swap_b32_e32 v150, v154                       // 00000000B4E8: 7F2CB39A
	v_permlane16_swap_b32_e32 v151, v155                       // 00000000B4EC: 7F2EB39B
	ds_bpermute_b32 v52, v35, v148                             // 00000000B4F0: D87E0000 34009423
	ds_bpermute_b32 v53, v35, v149                             // 00000000B4F8: D87E0000 35009523
	ds_bpermute_b32 v54, v35, v150                             // 00000000B500: D87E0000 36009623
	ds_bpermute_b32 v55, v35, v151                             // 00000000B508: D87E0000 37009723
	ds_bpermute_b32 v56, v35, v152                             // 00000000B510: D87E0000 38009823
	ds_bpermute_b32 v57, v35, v153                             // 00000000B518: D87E0000 39009923
	ds_bpermute_b32 v58, v35, v154                             // 00000000B520: D87E0000 3A009A23
	ds_bpermute_b32 v59, v35, v155                             // 00000000B528: D87E0000 3B009B23
	s_waitcnt lgkmcnt(12)                                      // 00000000B530: BF8CCC7F
	buffer_store_dwordx4 v[44:47], v219, s[8:11], 0 offen      // 00000000B534: E07C1000 80022CDB
	s_waitcnt lgkmcnt(8)                                       // 00000000B53C: BF8CC87F
	buffer_store_dwordx4 v[48:51], v220, s[8:11], 0 offen      // 00000000B540: E07C1000 800230DC
	s_mov_b32 s56, 64                                          // 00000000B548: BEB800C0
	v_add_u32_e32 v219, s56, v219                              // 00000000B54C: 69B7B638
	v_add_u32_e32 v220, s56, v220                              // 00000000B550: 69B9B838
	s_waitcnt lgkmcnt(4)                                       // 00000000B554: BF8CC47F
	buffer_store_dwordx4 v[52:55], v219, s[8:11], 0 offen      // 00000000B558: E07C1000 800234DB
	s_waitcnt lgkmcnt(0)                                       // 00000000B560: BF8CC07F
	buffer_store_dwordx4 v[56:59], v220, s[8:11], 0 offen      // 00000000B564: E07C1000 800238DC
	v_add_u32_e32 v219, s56, v219                              // 00000000B56C: 69B7B638
	v_add_u32_e32 v220, s56, v220                              // 00000000B570: 69B9B838
	v_permlane16_swap_b32_e32 v156, v160                       // 00000000B574: 7F38B3A0
	v_permlane16_swap_b32_e32 v157, v161                       // 00000000B578: 7F3AB3A1
	v_permlane16_swap_b32_e32 v158, v162                       // 00000000B57C: 7F3CB3A2
	v_permlane16_swap_b32_e32 v159, v163                       // 00000000B580: 7F3EB3A3
	ds_bpermute_b32 v44, v35, v156                             // 00000000B584: D87E0000 2C009C23
	ds_bpermute_b32 v45, v35, v157                             // 00000000B58C: D87E0000 2D009D23
	ds_bpermute_b32 v46, v35, v158                             // 00000000B594: D87E0000 2E009E23
	ds_bpermute_b32 v47, v35, v159                             // 00000000B59C: D87E0000 2F009F23
	ds_bpermute_b32 v48, v35, v160                             // 00000000B5A4: D87E0000 3000A023
	ds_bpermute_b32 v49, v35, v161                             // 00000000B5AC: D87E0000 3100A123
	ds_bpermute_b32 v50, v35, v162                             // 00000000B5B4: D87E0000 3200A223
	ds_bpermute_b32 v51, v35, v163                             // 00000000B5BC: D87E0000 3300A323
	v_permlane16_swap_b32_e32 v164, v168                       // 00000000B5C4: 7F48B3A8
	v_permlane16_swap_b32_e32 v165, v169                       // 00000000B5C8: 7F4AB3A9
	v_permlane16_swap_b32_e32 v166, v170                       // 00000000B5CC: 7F4CB3AA
	v_permlane16_swap_b32_e32 v167, v171                       // 00000000B5D0: 7F4EB3AB
	ds_bpermute_b32 v52, v35, v164                             // 00000000B5D4: D87E0000 3400A423
	ds_bpermute_b32 v53, v35, v165                             // 00000000B5DC: D87E0000 3500A523
	ds_bpermute_b32 v54, v35, v166                             // 00000000B5E4: D87E0000 3600A623
	ds_bpermute_b32 v55, v35, v167                             // 00000000B5EC: D87E0000 3700A723
	ds_bpermute_b32 v56, v35, v168                             // 00000000B5F4: D87E0000 3800A823
	ds_bpermute_b32 v57, v35, v169                             // 00000000B5FC: D87E0000 3900A923
	ds_bpermute_b32 v58, v35, v170                             // 00000000B604: D87E0000 3A00AA23
	ds_bpermute_b32 v59, v35, v171                             // 00000000B60C: D87E0000 3B00AB23
	s_waitcnt lgkmcnt(12)                                      // 00000000B614: BF8CCC7F
	buffer_store_dwordx4 v[44:47], v219, s[8:11], 0 offen      // 00000000B618: E07C1000 80022CDB
	s_waitcnt lgkmcnt(8)                                       // 00000000B620: BF8CC87F
	buffer_store_dwordx4 v[48:51], v220, s[8:11], 0 offen      // 00000000B624: E07C1000 800230DC
	s_mov_b32 s56, 64                                          // 00000000B62C: BEB800C0
	v_add_u32_e32 v219, s56, v219                              // 00000000B630: 69B7B638
	v_add_u32_e32 v220, s56, v220                              // 00000000B634: 69B9B838
	s_waitcnt lgkmcnt(4)                                       // 00000000B638: BF8CC47F
	buffer_store_dwordx4 v[52:55], v219, s[8:11], 0 offen      // 00000000B63C: E07C1000 800234DB
	s_waitcnt lgkmcnt(0)                                       // 00000000B644: BF8CC07F
	buffer_store_dwordx4 v[56:59], v220, s[8:11], 0 offen      // 00000000B648: E07C1000 800238DC
	v_add_u32_e32 v219, s56, v219                              // 00000000B650: 69B7B638
	v_add_u32_e32 v220, s56, v220                              // 00000000B654: 69B9B838
	v_permlane16_swap_b32_e32 v172, v176                       // 00000000B658: 7F58B3B0
	v_permlane16_swap_b32_e32 v173, v177                       // 00000000B65C: 7F5AB3B1
	v_permlane16_swap_b32_e32 v174, v178                       // 00000000B660: 7F5CB3B2
	v_permlane16_swap_b32_e32 v175, v179                       // 00000000B664: 7F5EB3B3
	ds_bpermute_b32 v44, v35, v172                             // 00000000B668: D87E0000 2C00AC23
	ds_bpermute_b32 v45, v35, v173                             // 00000000B670: D87E0000 2D00AD23
	ds_bpermute_b32 v46, v35, v174                             // 00000000B678: D87E0000 2E00AE23
	ds_bpermute_b32 v47, v35, v175                             // 00000000B680: D87E0000 2F00AF23
	ds_bpermute_b32 v48, v35, v176                             // 00000000B688: D87E0000 3000B023
	ds_bpermute_b32 v49, v35, v177                             // 00000000B690: D87E0000 3100B123
	ds_bpermute_b32 v50, v35, v178                             // 00000000B698: D87E0000 3200B223
	ds_bpermute_b32 v51, v35, v179                             // 00000000B6A0: D87E0000 3300B323
	v_permlane16_swap_b32_e32 v180, v184                       // 00000000B6A8: 7F68B3B8
	v_permlane16_swap_b32_e32 v181, v185                       // 00000000B6AC: 7F6AB3B9
	v_permlane16_swap_b32_e32 v182, v186                       // 00000000B6B0: 7F6CB3BA
	v_permlane16_swap_b32_e32 v183, v187                       // 00000000B6B4: 7F6EB3BB
	ds_bpermute_b32 v52, v35, v180                             // 00000000B6B8: D87E0000 3400B423
	ds_bpermute_b32 v53, v35, v181                             // 00000000B6C0: D87E0000 3500B523
	ds_bpermute_b32 v54, v35, v182                             // 00000000B6C8: D87E0000 3600B623
	ds_bpermute_b32 v55, v35, v183                             // 00000000B6D0: D87E0000 3700B723
	ds_bpermute_b32 v56, v35, v184                             // 00000000B6D8: D87E0000 3800B823
	ds_bpermute_b32 v57, v35, v185                             // 00000000B6E0: D87E0000 3900B923
	ds_bpermute_b32 v58, v35, v186                             // 00000000B6E8: D87E0000 3A00BA23
	ds_bpermute_b32 v59, v35, v187                             // 00000000B6F0: D87E0000 3B00BB23
	s_waitcnt lgkmcnt(12)                                      // 00000000B6F8: BF8CCC7F
	buffer_store_dwordx4 v[44:47], v219, s[8:11], 0 offen      // 00000000B6FC: E07C1000 80022CDB
	s_waitcnt lgkmcnt(8)                                       // 00000000B704: BF8CC87F
	buffer_store_dwordx4 v[48:51], v220, s[8:11], 0 offen      // 00000000B708: E07C1000 800230DC
	s_mov_b32 s56, 64                                          // 00000000B710: BEB800C0
	v_add_u32_e32 v219, s56, v219                              // 00000000B714: 69B7B638
	v_add_u32_e32 v220, s56, v220                              // 00000000B718: 69B9B838
	s_waitcnt lgkmcnt(4)                                       // 00000000B71C: BF8CC47F
	buffer_store_dwordx4 v[52:55], v219, s[8:11], 0 offen      // 00000000B720: E07C1000 800234DB
	s_waitcnt lgkmcnt(0)                                       // 00000000B728: BF8CC07F
	buffer_store_dwordx4 v[56:59], v220, s[8:11], 0 offen      // 00000000B72C: E07C1000 800238DC
	v_add_u32_e32 v219, s56, v219                              // 00000000B734: 69B7B638
	v_add_u32_e32 v220, s56, v220                              // 00000000B738: 69B9B838
	v_permlane16_swap_b32_e32 v188, v192                       // 00000000B73C: 7F78B3C0
	v_permlane16_swap_b32_e32 v189, v193                       // 00000000B740: 7F7AB3C1
	v_permlane16_swap_b32_e32 v190, v194                       // 00000000B744: 7F7CB3C2
	v_permlane16_swap_b32_e32 v191, v195                       // 00000000B748: 7F7EB3C3
	ds_bpermute_b32 v44, v35, v188                             // 00000000B74C: D87E0000 2C00BC23
	ds_bpermute_b32 v45, v35, v189                             // 00000000B754: D87E0000 2D00BD23
	ds_bpermute_b32 v46, v35, v190                             // 00000000B75C: D87E0000 2E00BE23
	ds_bpermute_b32 v47, v35, v191                             // 00000000B764: D87E0000 2F00BF23
	ds_bpermute_b32 v48, v35, v192                             // 00000000B76C: D87E0000 3000C023
	ds_bpermute_b32 v49, v35, v193                             // 00000000B774: D87E0000 3100C123
	ds_bpermute_b32 v50, v35, v194                             // 00000000B77C: D87E0000 3200C223
	ds_bpermute_b32 v51, v35, v195                             // 00000000B784: D87E0000 3300C323
	v_permlane16_swap_b32_e32 v196, v200                       // 00000000B78C: 7F88B3C8
	v_permlane16_swap_b32_e32 v197, v201                       // 00000000B790: 7F8AB3C9
	v_permlane16_swap_b32_e32 v198, v202                       // 00000000B794: 7F8CB3CA
	v_permlane16_swap_b32_e32 v199, v203                       // 00000000B798: 7F8EB3CB
	ds_bpermute_b32 v52, v35, v196                             // 00000000B79C: D87E0000 3400C423
	ds_bpermute_b32 v53, v35, v197                             // 00000000B7A4: D87E0000 3500C523
	ds_bpermute_b32 v54, v35, v198                             // 00000000B7AC: D87E0000 3600C623
	ds_bpermute_b32 v55, v35, v199                             // 00000000B7B4: D87E0000 3700C723
	ds_bpermute_b32 v56, v35, v200                             // 00000000B7BC: D87E0000 3800C823
	ds_bpermute_b32 v57, v35, v201                             // 00000000B7C4: D87E0000 3900C923
	ds_bpermute_b32 v58, v35, v202                             // 00000000B7CC: D87E0000 3A00CA23
	ds_bpermute_b32 v59, v35, v203                             // 00000000B7D4: D87E0000 3B00CB23
	s_waitcnt lgkmcnt(12)                                      // 00000000B7DC: BF8CCC7F
	buffer_store_dwordx4 v[44:47], v219, s[8:11], 0 offen      // 00000000B7E0: E07C1000 80022CDB
	s_waitcnt lgkmcnt(8)                                       // 00000000B7E8: BF8CC87F
	buffer_store_dwordx4 v[48:51], v220, s[8:11], 0 offen      // 00000000B7EC: E07C1000 800230DC
	s_mov_b32 s56, 64                                          // 00000000B7F4: BEB800C0
	v_add_u32_e32 v219, s56, v219                              // 00000000B7F8: 69B7B638
	v_add_u32_e32 v220, s56, v220                              // 00000000B7FC: 69B9B838
	s_waitcnt lgkmcnt(4)                                       // 00000000B800: BF8CC47F
	buffer_store_dwordx4 v[52:55], v219, s[8:11], 0 offen      // 00000000B804: E07C1000 800234DB
	s_waitcnt lgkmcnt(0)                                       // 00000000B80C: BF8CC07F
	buffer_store_dwordx4 v[56:59], v220, s[8:11], 0 offen      // 00000000B810: E07C1000 800238DC
	v_add_u32_e32 v219, s56, v219                              // 00000000B818: 69B7B638
	v_add_u32_e32 v220, s56, v220                              // 00000000B81C: 69B9B838
	buffer_store_dword v218, v221, s[12:15], 0 offen           // 00000000B820: E0701000 8003DADD
	s_branch label_9C04                                        // 00000000B828: BF8201B6

000000000000b82c <label_952C>:
	s_mul_i32 s75, 0x400, s65                                  // 00000000B82C: 924B41FF 00000400
	s_mov_b32 s56, s79                                         // 00000000B834: BEB8004F
	s_mul_i32 s56, s56, s75                                    // 00000000B838: 92384B38
	s_add_u32 s88, s56, s88                                    // 00000000B83C: 80585838
	s_addc_u32 s89, 0, s89                                     // 00000000B840: 82595980
	s_mul_i32 s56, s75, s81                                    // 00000000B844: 9238514B
	s_mov_b32 s90, s56                                         // 00000000B848: BEDA0038
	s_mov_b32 s57, 0x8000                                      // 00000000B84C: BEB900FF 00008000
	s_lshr_b32 s56, s7, 1                                      // 00000000B854: 8F388107
	s_mul_i32 s56, s56, s57                                    // 00000000B858: 92383938
	s_mov_b32 s58, 0x200                                       // 00000000B85C: BEBA00FF 00000200
	s_and_b32 s57, 1, s7                                       // 00000000B864: 86390781
	s_mul_i32 s57, s57, s58                                    // 00000000B868: 92393A39
	s_add_u32 s56, s56, s57                                    // 00000000B86C: 80383938
	v_lshrrev_b32_e32 v219, 2, v0                              // 00000000B870: 21B60082
	s_mov_b32 s57, 0x400                                       // 00000000B874: BEB900FF 00000400
	v_mul_i32_i24_e32 v219, s57, v219                          // 00000000B87C: 0DB7B639
	v_and_b32_e32 v35, 3, v0                                   // 00000000B880: 26460083
	v_lshlrev_b32_e32 v35, 4, v35                              // 00000000B884: 24464684
	v_add_u32_e32 v219, v35, v219                              // 00000000B888: 69B7B723
	v_add_u32_e32 v219, s56, v219                              // 00000000B88C: 69B7B638
	s_mov_b32 s57, 0x4000                                      // 00000000B890: BEB900FF 00004000
	v_add_u32_e32 v220, s57, v219                              // 00000000B898: 69B9B639
	v_and_b32_e32 v35, 1, v0                                   // 00000000B89C: 26460081
	v_lshlrev_b32_e32 v35, 5, v35                              // 00000000B8A0: 24464685
	v_and_b32_e32 v36, 3, v0                                   // 00000000B8A4: 26480083
	v_lshrrev_b32_e32 v36, 1, v36                              // 00000000B8A8: 20484881
	v_lshlrev_b32_e32 v36, 4, v36                              // 00000000B8AC: 24484884
	v_add_u32_e32 v35, v35, v36                                // 00000000B8B0: 68464923
	v_lshrrev_b32_e32 v36, 2, v0                               // 00000000B8B4: 20480082
	v_add_u32_e32 v35, v35, v36                                // 00000000B8B8: 68464923
	v_lshlrev_b32_e32 v35, 2, v35                              // 00000000B8BC: 24464682
	v_lshlrev_b32_e32 v37, 4, v0                               // 00000000B8C0: 244A0084
	v_cvt_pk_bf16_f32 v76, v76, v77                            // 00000000B8C4: D268004C 00029B4C
	v_cvt_pk_bf16_f32 v77, v78, v79                            // 00000000B8CC: D268004D 00029F4E
	v_cvt_pk_bf16_f32 v78, v80, v81                            // 00000000B8D4: D268004E 0002A350
	v_cvt_pk_bf16_f32 v79, v82, v83                            // 00000000B8DC: D268004F 0002A752
	v_cvt_pk_bf16_f32 v80, v84, v85                            // 00000000B8E4: D2680050 0002AB54
	v_cvt_pk_bf16_f32 v81, v86, v87                            // 00000000B8EC: D2680051 0002AF56
	v_cvt_pk_bf16_f32 v82, v88, v89                            // 00000000B8F4: D2680052 0002B358
	v_cvt_pk_bf16_f32 v83, v90, v91                            // 00000000B8FC: D2680053 0002B75A
	v_permlane32_swap_b32_e32 v76, v78                         // 00000000B904: 7E98B54E
	v_permlane32_swap_b32_e32 v77, v79                         // 00000000B908: 7E9AB54F
	v_permlane32_swap_b32_e32 v80, v82                         // 00000000B90C: 7EA0B552
	v_permlane32_swap_b32_e32 v81, v83                         // 00000000B910: 7EA2B553
	s_nop 1                                                    // 00000000B914: BF800001
	v_permlane16_swap_b32_e32 v76, v80                         // 00000000B918: 7E98B350
	v_permlane16_swap_b32_e32 v77, v81                         // 00000000B91C: 7E9AB351
	v_permlane16_swap_b32_e32 v78, v82                         // 00000000B920: 7E9CB352
	v_permlane16_swap_b32_e32 v79, v83                         // 00000000B924: 7E9EB353
	ds_bpermute_b32 v44, v35, v76                              // 00000000B928: D87E0000 2C004C23
	ds_bpermute_b32 v45, v35, v77                              // 00000000B930: D87E0000 2D004D23
	ds_bpermute_b32 v46, v35, v78                              // 00000000B938: D87E0000 2E004E23
	ds_bpermute_b32 v47, v35, v79                              // 00000000B940: D87E0000 2F004F23
	ds_bpermute_b32 v48, v35, v80                              // 00000000B948: D87E0000 30005023
	ds_bpermute_b32 v49, v35, v81                              // 00000000B950: D87E0000 31005123
	ds_bpermute_b32 v50, v35, v82                              // 00000000B958: D87E0000 32005223
	ds_bpermute_b32 v51, v35, v83                              // 00000000B960: D87E0000 33005323
	s_waitcnt lgkmcnt(4)                                       // 00000000B968: BF8CC47F
	buffer_store_dwordx4 v[44:47], v219, s[88:91], 0 offen     // 00000000B96C: E07C1000 80162CDB
	s_mov_b32 s56, 64                                          // 00000000B974: BEB800C0
	v_add_u32_e32 v219, s56, v219                              // 00000000B978: 69B7B638
	s_waitcnt lgkmcnt(0)                                       // 00000000B97C: BF8CC07F
	buffer_store_dwordx4 v[48:51], v220, s[88:91], 0 offen     // 00000000B980: E07C1000 801630DC
	v_add_u32_e32 v220, s56, v220                              // 00000000B988: 69B9B838
	v_cvt_pk_bf16_f32 v76, v92, v93                            // 00000000B98C: D268004C 0002BB5C
	v_cvt_pk_bf16_f32 v77, v94, v95                            // 00000000B994: D268004D 0002BF5E
	v_cvt_pk_bf16_f32 v78, v96, v97                            // 00000000B99C: D268004E 0002C360
	v_cvt_pk_bf16_f32 v79, v98, v99                            // 00000000B9A4: D268004F 0002C762
	v_cvt_pk_bf16_f32 v80, v100, v101                          // 00000000B9AC: D2680050 0002CB64
	v_cvt_pk_bf16_f32 v81, v102, v103                          // 00000000B9B4: D2680051 0002CF66
	v_cvt_pk_bf16_f32 v82, v104, v105                          // 00000000B9BC: D2680052 0002D368
	v_cvt_pk_bf16_f32 v83, v106, v107                          // 00000000B9C4: D2680053 0002D76A
	v_permlane32_swap_b32_e32 v76, v78                         // 00000000B9CC: 7E98B54E
	v_permlane32_swap_b32_e32 v77, v79                         // 00000000B9D0: 7E9AB54F
	v_permlane32_swap_b32_e32 v80, v82                         // 00000000B9D4: 7EA0B552
	v_permlane32_swap_b32_e32 v81, v83                         // 00000000B9D8: 7EA2B553
	s_nop 1                                                    // 00000000B9DC: BF800001
	v_permlane16_swap_b32_e32 v76, v80                         // 00000000B9E0: 7E98B350
	v_permlane16_swap_b32_e32 v77, v81                         // 00000000B9E4: 7E9AB351
	v_permlane16_swap_b32_e32 v78, v82                         // 00000000B9E8: 7E9CB352
	v_permlane16_swap_b32_e32 v79, v83                         // 00000000B9EC: 7E9EB353
	ds_bpermute_b32 v44, v35, v76                              // 00000000B9F0: D87E0000 2C004C23
	ds_bpermute_b32 v45, v35, v77                              // 00000000B9F8: D87E0000 2D004D23
	ds_bpermute_b32 v46, v35, v78                              // 00000000BA00: D87E0000 2E004E23
	ds_bpermute_b32 v47, v35, v79                              // 00000000BA08: D87E0000 2F004F23
	ds_bpermute_b32 v48, v35, v80                              // 00000000BA10: D87E0000 30005023
	ds_bpermute_b32 v49, v35, v81                              // 00000000BA18: D87E0000 31005123
	ds_bpermute_b32 v50, v35, v82                              // 00000000BA20: D87E0000 32005223
	ds_bpermute_b32 v51, v35, v83                              // 00000000BA28: D87E0000 33005323
	s_waitcnt lgkmcnt(4)                                       // 00000000BA30: BF8CC47F
	buffer_store_dwordx4 v[44:47], v219, s[88:91], 0 offen     // 00000000BA34: E07C1000 80162CDB
	s_mov_b32 s56, 64                                          // 00000000BA3C: BEB800C0
	v_add_u32_e32 v219, s56, v219                              // 00000000BA40: 69B7B638
	s_waitcnt lgkmcnt(0)                                       // 00000000BA44: BF8CC07F
	buffer_store_dwordx4 v[48:51], v220, s[88:91], 0 offen     // 00000000BA48: E07C1000 801630DC
	v_add_u32_e32 v220, s56, v220                              // 00000000BA50: 69B9B838
	v_cvt_pk_bf16_f32 v76, v108, v109                          // 00000000BA54: D268004C 0002DB6C
	v_cvt_pk_bf16_f32 v77, v110, v111                          // 00000000BA5C: D268004D 0002DF6E
	v_cvt_pk_bf16_f32 v78, v112, v113                          // 00000000BA64: D268004E 0002E370
	v_cvt_pk_bf16_f32 v79, v114, v115                          // 00000000BA6C: D268004F 0002E772
	v_cvt_pk_bf16_f32 v80, v116, v117                          // 00000000BA74: D2680050 0002EB74
	v_cvt_pk_bf16_f32 v81, v118, v119                          // 00000000BA7C: D2680051 0002EF76
	v_cvt_pk_bf16_f32 v82, v120, v121                          // 00000000BA84: D2680052 0002F378
	v_cvt_pk_bf16_f32 v83, v122, v123                          // 00000000BA8C: D2680053 0002F77A
	v_permlane32_swap_b32_e32 v76, v78                         // 00000000BA94: 7E98B54E
	v_permlane32_swap_b32_e32 v77, v79                         // 00000000BA98: 7E9AB54F
	v_permlane32_swap_b32_e32 v80, v82                         // 00000000BA9C: 7EA0B552
	v_permlane32_swap_b32_e32 v81, v83                         // 00000000BAA0: 7EA2B553
	s_nop 1                                                    // 00000000BAA4: BF800001
	v_permlane16_swap_b32_e32 v76, v80                         // 00000000BAA8: 7E98B350
	v_permlane16_swap_b32_e32 v77, v81                         // 00000000BAAC: 7E9AB351
	v_permlane16_swap_b32_e32 v78, v82                         // 00000000BAB0: 7E9CB352
	v_permlane16_swap_b32_e32 v79, v83                         // 00000000BAB4: 7E9EB353
	ds_bpermute_b32 v44, v35, v76                              // 00000000BAB8: D87E0000 2C004C23
	ds_bpermute_b32 v45, v35, v77                              // 00000000BAC0: D87E0000 2D004D23
	ds_bpermute_b32 v46, v35, v78                              // 00000000BAC8: D87E0000 2E004E23
	ds_bpermute_b32 v47, v35, v79                              // 00000000BAD0: D87E0000 2F004F23
	ds_bpermute_b32 v48, v35, v80                              // 00000000BAD8: D87E0000 30005023
	ds_bpermute_b32 v49, v35, v81                              // 00000000BAE0: D87E0000 31005123
	ds_bpermute_b32 v50, v35, v82                              // 00000000BAE8: D87E0000 32005223
	ds_bpermute_b32 v51, v35, v83                              // 00000000BAF0: D87E0000 33005323
	s_waitcnt lgkmcnt(4)                                       // 00000000BAF8: BF8CC47F
	buffer_store_dwordx4 v[44:47], v219, s[88:91], 0 offen     // 00000000BAFC: E07C1000 80162CDB
	s_mov_b32 s56, 64                                          // 00000000BB04: BEB800C0
	v_add_u32_e32 v219, s56, v219                              // 00000000BB08: 69B7B638
	s_waitcnt lgkmcnt(0)                                       // 00000000BB0C: BF8CC07F
	buffer_store_dwordx4 v[48:51], v220, s[88:91], 0 offen     // 00000000BB10: E07C1000 801630DC
	v_add_u32_e32 v220, s56, v220                              // 00000000BB18: 69B9B838
	v_cvt_pk_bf16_f32 v76, v124, v125                          // 00000000BB1C: D268004C 0002FB7C
	v_cvt_pk_bf16_f32 v77, v126, v127                          // 00000000BB24: D268004D 0002FF7E
	v_cvt_pk_bf16_f32 v78, v128, v129                          // 00000000BB2C: D268004E 00030380
	v_cvt_pk_bf16_f32 v79, v130, v131                          // 00000000BB34: D268004F 00030782
	v_cvt_pk_bf16_f32 v80, v132, v133                          // 00000000BB3C: D2680050 00030B84
	v_cvt_pk_bf16_f32 v81, v134, v135                          // 00000000BB44: D2680051 00030F86
	v_cvt_pk_bf16_f32 v82, v136, v137                          // 00000000BB4C: D2680052 00031388
	v_cvt_pk_bf16_f32 v83, v138, v139                          // 00000000BB54: D2680053 0003178A
	v_permlane32_swap_b32_e32 v76, v78                         // 00000000BB5C: 7E98B54E
	v_permlane32_swap_b32_e32 v77, v79                         // 00000000BB60: 7E9AB54F
	v_permlane32_swap_b32_e32 v80, v82                         // 00000000BB64: 7EA0B552
	v_permlane32_swap_b32_e32 v81, v83                         // 00000000BB68: 7EA2B553
	s_nop 1                                                    // 00000000BB6C: BF800001
	v_permlane16_swap_b32_e32 v76, v80                         // 00000000BB70: 7E98B350
	v_permlane16_swap_b32_e32 v77, v81                         // 00000000BB74: 7E9AB351
	v_permlane16_swap_b32_e32 v78, v82                         // 00000000BB78: 7E9CB352
	v_permlane16_swap_b32_e32 v79, v83                         // 00000000BB7C: 7E9EB353
	ds_bpermute_b32 v44, v35, v76                              // 00000000BB80: D87E0000 2C004C23
	ds_bpermute_b32 v45, v35, v77                              // 00000000BB88: D87E0000 2D004D23
	ds_bpermute_b32 v46, v35, v78                              // 00000000BB90: D87E0000 2E004E23
	ds_bpermute_b32 v47, v35, v79                              // 00000000BB98: D87E0000 2F004F23
	ds_bpermute_b32 v48, v35, v80                              // 00000000BBA0: D87E0000 30005023
	ds_bpermute_b32 v49, v35, v81                              // 00000000BBA8: D87E0000 31005123
	ds_bpermute_b32 v50, v35, v82                              // 00000000BBB0: D87E0000 32005223
	ds_bpermute_b32 v51, v35, v83                              // 00000000BBB8: D87E0000 33005323
	s_waitcnt lgkmcnt(4)                                       // 00000000BBC0: BF8CC47F
	buffer_store_dwordx4 v[44:47], v219, s[88:91], 0 offen     // 00000000BBC4: E07C1000 80162CDB
	s_mov_b32 s56, 64                                          // 00000000BBCC: BEB800C0
	v_add_u32_e32 v219, s56, v219                              // 00000000BBD0: 69B7B638
	s_waitcnt lgkmcnt(0)                                       // 00000000BBD4: BF8CC07F
	buffer_store_dwordx4 v[48:51], v220, s[88:91], 0 offen     // 00000000BBD8: E07C1000 801630DC
	v_add_u32_e32 v220, s56, v220                              // 00000000BBE0: 69B9B838
	v_cvt_pk_bf16_f32 v76, v140, v141                          // 00000000BBE4: D268004C 00031B8C
	v_cvt_pk_bf16_f32 v77, v142, v143                          // 00000000BBEC: D268004D 00031F8E
	v_cvt_pk_bf16_f32 v78, v144, v145                          // 00000000BBF4: D268004E 00032390
	v_cvt_pk_bf16_f32 v79, v146, v147                          // 00000000BBFC: D268004F 00032792
	v_cvt_pk_bf16_f32 v80, v148, v149                          // 00000000BC04: D2680050 00032B94
	v_cvt_pk_bf16_f32 v81, v150, v151                          // 00000000BC0C: D2680051 00032F96
	v_cvt_pk_bf16_f32 v82, v152, v153                          // 00000000BC14: D2680052 00033398
	v_cvt_pk_bf16_f32 v83, v154, v155                          // 00000000BC1C: D2680053 0003379A
	v_permlane32_swap_b32_e32 v76, v78                         // 00000000BC24: 7E98B54E
	v_permlane32_swap_b32_e32 v77, v79                         // 00000000BC28: 7E9AB54F
	v_permlane32_swap_b32_e32 v80, v82                         // 00000000BC2C: 7EA0B552
	v_permlane32_swap_b32_e32 v81, v83                         // 00000000BC30: 7EA2B553
	s_nop 1                                                    // 00000000BC34: BF800001
	v_permlane16_swap_b32_e32 v76, v80                         // 00000000BC38: 7E98B350
	v_permlane16_swap_b32_e32 v77, v81                         // 00000000BC3C: 7E9AB351
	v_permlane16_swap_b32_e32 v78, v82                         // 00000000BC40: 7E9CB352
	v_permlane16_swap_b32_e32 v79, v83                         // 00000000BC44: 7E9EB353
	ds_bpermute_b32 v44, v35, v76                              // 00000000BC48: D87E0000 2C004C23
	ds_bpermute_b32 v45, v35, v77                              // 00000000BC50: D87E0000 2D004D23
	ds_bpermute_b32 v46, v35, v78                              // 00000000BC58: D87E0000 2E004E23
	ds_bpermute_b32 v47, v35, v79                              // 00000000BC60: D87E0000 2F004F23
	ds_bpermute_b32 v48, v35, v80                              // 00000000BC68: D87E0000 30005023
	ds_bpermute_b32 v49, v35, v81                              // 00000000BC70: D87E0000 31005123
	ds_bpermute_b32 v50, v35, v82                              // 00000000BC78: D87E0000 32005223
	ds_bpermute_b32 v51, v35, v83                              // 00000000BC80: D87E0000 33005323
	s_waitcnt lgkmcnt(4)                                       // 00000000BC88: BF8CC47F
	buffer_store_dwordx4 v[44:47], v219, s[88:91], 0 offen     // 00000000BC8C: E07C1000 80162CDB
	s_mov_b32 s56, 64                                          // 00000000BC94: BEB800C0
	v_add_u32_e32 v219, s56, v219                              // 00000000BC98: 69B7B638
	s_waitcnt lgkmcnt(0)                                       // 00000000BC9C: BF8CC07F
	buffer_store_dwordx4 v[48:51], v220, s[88:91], 0 offen     // 00000000BCA0: E07C1000 801630DC
	v_add_u32_e32 v220, s56, v220                              // 00000000BCA8: 69B9B838
	v_cvt_pk_bf16_f32 v76, v156, v157                          // 00000000BCAC: D268004C 00033B9C
	v_cvt_pk_bf16_f32 v77, v158, v159                          // 00000000BCB4: D268004D 00033F9E
	v_cvt_pk_bf16_f32 v78, v160, v161                          // 00000000BCBC: D268004E 000343A0
	v_cvt_pk_bf16_f32 v79, v162, v163                          // 00000000BCC4: D268004F 000347A2
	v_cvt_pk_bf16_f32 v80, v164, v165                          // 00000000BCCC: D2680050 00034BA4
	v_cvt_pk_bf16_f32 v81, v166, v167                          // 00000000BCD4: D2680051 00034FA6
	v_cvt_pk_bf16_f32 v82, v168, v169                          // 00000000BCDC: D2680052 000353A8
	v_cvt_pk_bf16_f32 v83, v170, v171                          // 00000000BCE4: D2680053 000357AA
	v_permlane32_swap_b32_e32 v76, v78                         // 00000000BCEC: 7E98B54E
	v_permlane32_swap_b32_e32 v77, v79                         // 00000000BCF0: 7E9AB54F
	v_permlane32_swap_b32_e32 v80, v82                         // 00000000BCF4: 7EA0B552
	v_permlane32_swap_b32_e32 v81, v83                         // 00000000BCF8: 7EA2B553
	s_nop 1                                                    // 00000000BCFC: BF800001
	v_permlane16_swap_b32_e32 v76, v80                         // 00000000BD00: 7E98B350
	v_permlane16_swap_b32_e32 v77, v81                         // 00000000BD04: 7E9AB351
	v_permlane16_swap_b32_e32 v78, v82                         // 00000000BD08: 7E9CB352
	v_permlane16_swap_b32_e32 v79, v83                         // 00000000BD0C: 7E9EB353
	ds_bpermute_b32 v44, v35, v76                              // 00000000BD10: D87E0000 2C004C23
	ds_bpermute_b32 v45, v35, v77                              // 00000000BD18: D87E0000 2D004D23
	ds_bpermute_b32 v46, v35, v78                              // 00000000BD20: D87E0000 2E004E23
	ds_bpermute_b32 v47, v35, v79                              // 00000000BD28: D87E0000 2F004F23
	ds_bpermute_b32 v48, v35, v80                              // 00000000BD30: D87E0000 30005023
	ds_bpermute_b32 v49, v35, v81                              // 00000000BD38: D87E0000 31005123
	ds_bpermute_b32 v50, v35, v82                              // 00000000BD40: D87E0000 32005223
	ds_bpermute_b32 v51, v35, v83                              // 00000000BD48: D87E0000 33005323
	s_waitcnt lgkmcnt(4)                                       // 00000000BD50: BF8CC47F
	buffer_store_dwordx4 v[44:47], v219, s[88:91], 0 offen     // 00000000BD54: E07C1000 80162CDB
	s_mov_b32 s56, 64                                          // 00000000BD5C: BEB800C0
	v_add_u32_e32 v219, s56, v219                              // 00000000BD60: 69B7B638
	s_waitcnt lgkmcnt(0)                                       // 00000000BD64: BF8CC07F
	buffer_store_dwordx4 v[48:51], v220, s[88:91], 0 offen     // 00000000BD68: E07C1000 801630DC
	v_add_u32_e32 v220, s56, v220                              // 00000000BD70: 69B9B838
	v_cvt_pk_bf16_f32 v76, v172, v173                          // 00000000BD74: D268004C 00035BAC
	v_cvt_pk_bf16_f32 v77, v174, v175                          // 00000000BD7C: D268004D 00035FAE
	v_cvt_pk_bf16_f32 v78, v176, v177                          // 00000000BD84: D268004E 000363B0
	v_cvt_pk_bf16_f32 v79, v178, v179                          // 00000000BD8C: D268004F 000367B2
	v_cvt_pk_bf16_f32 v80, v180, v181                          // 00000000BD94: D2680050 00036BB4
	v_cvt_pk_bf16_f32 v81, v182, v183                          // 00000000BD9C: D2680051 00036FB6
	v_cvt_pk_bf16_f32 v82, v184, v185                          // 00000000BDA4: D2680052 000373B8
	v_cvt_pk_bf16_f32 v83, v186, v187                          // 00000000BDAC: D2680053 000377BA
	v_permlane32_swap_b32_e32 v76, v78                         // 00000000BDB4: 7E98B54E
	v_permlane32_swap_b32_e32 v77, v79                         // 00000000BDB8: 7E9AB54F
	v_permlane32_swap_b32_e32 v80, v82                         // 00000000BDBC: 7EA0B552
	v_permlane32_swap_b32_e32 v81, v83                         // 00000000BDC0: 7EA2B553
	s_nop 1                                                    // 00000000BDC4: BF800001
	v_permlane16_swap_b32_e32 v76, v80                         // 00000000BDC8: 7E98B350
	v_permlane16_swap_b32_e32 v77, v81                         // 00000000BDCC: 7E9AB351
	v_permlane16_swap_b32_e32 v78, v82                         // 00000000BDD0: 7E9CB352
	v_permlane16_swap_b32_e32 v79, v83                         // 00000000BDD4: 7E9EB353
	ds_bpermute_b32 v44, v35, v76                              // 00000000BDD8: D87E0000 2C004C23
	ds_bpermute_b32 v45, v35, v77                              // 00000000BDE0: D87E0000 2D004D23
	ds_bpermute_b32 v46, v35, v78                              // 00000000BDE8: D87E0000 2E004E23
	ds_bpermute_b32 v47, v35, v79                              // 00000000BDF0: D87E0000 2F004F23
	ds_bpermute_b32 v48, v35, v80                              // 00000000BDF8: D87E0000 30005023
	ds_bpermute_b32 v49, v35, v81                              // 00000000BE00: D87E0000 31005123
	ds_bpermute_b32 v50, v35, v82                              // 00000000BE08: D87E0000 32005223
	ds_bpermute_b32 v51, v35, v83                              // 00000000BE10: D87E0000 33005323
	s_waitcnt lgkmcnt(4)                                       // 00000000BE18: BF8CC47F
	buffer_store_dwordx4 v[44:47], v219, s[88:91], 0 offen     // 00000000BE1C: E07C1000 80162CDB
	s_mov_b32 s56, 64                                          // 00000000BE24: BEB800C0
	v_add_u32_e32 v219, s56, v219                              // 00000000BE28: 69B7B638
	s_waitcnt lgkmcnt(0)                                       // 00000000BE2C: BF8CC07F
	buffer_store_dwordx4 v[48:51], v220, s[88:91], 0 offen     // 00000000BE30: E07C1000 801630DC
	v_add_u32_e32 v220, s56, v220                              // 00000000BE38: 69B9B838
	v_cvt_pk_bf16_f32 v76, v188, v189                          // 00000000BE3C: D268004C 00037BBC
	v_cvt_pk_bf16_f32 v77, v190, v191                          // 00000000BE44: D268004D 00037FBE
	v_cvt_pk_bf16_f32 v78, v192, v193                          // 00000000BE4C: D268004E 000383C0
	v_cvt_pk_bf16_f32 v79, v194, v195                          // 00000000BE54: D268004F 000387C2
	v_cvt_pk_bf16_f32 v80, v196, v197                          // 00000000BE5C: D2680050 00038BC4
	v_cvt_pk_bf16_f32 v81, v198, v199                          // 00000000BE64: D2680051 00038FC6
	v_cvt_pk_bf16_f32 v82, v200, v201                          // 00000000BE6C: D2680052 000393C8
	v_cvt_pk_bf16_f32 v83, v202, v203                          // 00000000BE74: D2680053 000397CA
	v_permlane32_swap_b32_e32 v76, v78                         // 00000000BE7C: 7E98B54E
	v_permlane32_swap_b32_e32 v77, v79                         // 00000000BE80: 7E9AB54F
	v_permlane32_swap_b32_e32 v80, v82                         // 00000000BE84: 7EA0B552
	v_permlane32_swap_b32_e32 v81, v83                         // 00000000BE88: 7EA2B553
	s_nop 1                                                    // 00000000BE8C: BF800001
	v_permlane16_swap_b32_e32 v76, v80                         // 00000000BE90: 7E98B350
	v_permlane16_swap_b32_e32 v77, v81                         // 00000000BE94: 7E9AB351
	v_permlane16_swap_b32_e32 v78, v82                         // 00000000BE98: 7E9CB352
	v_permlane16_swap_b32_e32 v79, v83                         // 00000000BE9C: 7E9EB353
	ds_bpermute_b32 v44, v35, v76                              // 00000000BEA0: D87E0000 2C004C23
	ds_bpermute_b32 v45, v35, v77                              // 00000000BEA8: D87E0000 2D004D23
	ds_bpermute_b32 v46, v35, v78                              // 00000000BEB0: D87E0000 2E004E23
	ds_bpermute_b32 v47, v35, v79                              // 00000000BEB8: D87E0000 2F004F23
	ds_bpermute_b32 v48, v35, v80                              // 00000000BEC0: D87E0000 30005023
	ds_bpermute_b32 v49, v35, v81                              // 00000000BEC8: D87E0000 31005123
	ds_bpermute_b32 v50, v35, v82                              // 00000000BED0: D87E0000 32005223
	ds_bpermute_b32 v51, v35, v83                              // 00000000BED8: D87E0000 33005323
	s_waitcnt lgkmcnt(4)                                       // 00000000BEE0: BF8CC47F
	buffer_store_dwordx4 v[44:47], v219, s[88:91], 0 offen     // 00000000BEE4: E07C1000 80162CDB
	s_mov_b32 s56, 64                                          // 00000000BEEC: BEB800C0
	v_add_u32_e32 v219, s56, v219                              // 00000000BEF0: 69B7B638
	s_waitcnt lgkmcnt(0)                                       // 00000000BEF4: BF8CC07F
	buffer_store_dwordx4 v[48:51], v220, s[88:91], 0 offen     // 00000000BEF8: E07C1000 801630DC
	v_add_u32_e32 v220, s56, v220                              // 00000000BF00: 69B9B838

000000000000bf04 <label_9C04>:
	s_mov_b32 s56, 32                                          // 00000000BF04: BEB800A0
	s_addk_i32 s85, 0x1                                        // 00000000BF08: B7550001
	s_cmp_lt_i32 s85, s86                                      // 00000000BF0C: BF045655
	s_cbranch_scc1 label_00A4                                  // 00000000BF10: BF85D924

000000000000bf14 <label_9C14>:
	s_waitcnt vmcnt(0) expcnt(0) lgkmcnt(0)                    // 00000000BF14: BF8C0000
	s_endpgm                                                   // 00000000BF18: BF810000
